;; amdgpu-corpus repo=ROCm/rocFFT kind=compiled arch=gfx950 opt=O3
	.text
	.amdgcn_target "amdgcn-amd-amdhsa--gfx950"
	.amdhsa_code_object_version 6
	.protected	bluestein_single_fwd_len1980_dim1_dp_op_CI_CI ; -- Begin function bluestein_single_fwd_len1980_dim1_dp_op_CI_CI
	.globl	bluestein_single_fwd_len1980_dim1_dp_op_CI_CI
	.p2align	8
	.type	bluestein_single_fwd_len1980_dim1_dp_op_CI_CI,@function
bluestein_single_fwd_len1980_dim1_dp_op_CI_CI: ; @bluestein_single_fwd_len1980_dim1_dp_op_CI_CI
; %bb.0:
	s_load_dwordx4 s[4:7], s[0:1], 0x28
	v_mul_u32_u24_e32 v1, 0x14b, v0
	v_mov_b32_e32 v187, 0
	v_add_u32_sdwa v182, s2, v1 dst_sel:DWORD dst_unused:UNUSED_PAD src0_sel:DWORD src1_sel:WORD_1
	v_mov_b32_e32 v183, v187
	s_waitcnt lgkmcnt(0)
	v_cmp_gt_u64_e32 vcc, s[4:5], v[182:183]
	s_and_saveexec_b64 s[2:3], vcc
	s_cbranch_execz .LBB0_31
; %bb.1:
	s_load_dwordx2 s[14:15], s[0:1], 0x0
	s_load_dwordx2 s[12:13], s[0:1], 0x38
	s_movk_i32 s2, 0xc6
	v_mul_lo_u16_sdwa v1, v1, s2 dst_sel:DWORD dst_unused:UNUSED_PAD src0_sel:WORD_1 src1_sel:DWORD
	v_sub_u16_e32 v186, v0, v1
	s_movk_i32 s2, 0xb4
	v_cmp_gt_u16_e64 s[4:5], s2, v186
	v_lshlrev_b32_e32 v184, 4, v186
	s_and_saveexec_b64 s[2:3], s[4:5]
	s_cbranch_execz .LBB0_3
; %bb.2:
	s_load_dwordx2 s[8:9], s[0:1], 0x18
	v_mov_b32_e32 v0, s6
	v_mov_b32_e32 v1, s7
	;; [unrolled: 1-line block ×3, first 2 shown]
	s_waitcnt lgkmcnt(0)
	v_lshl_add_u64 v[78:79], s[14:15], 0, v[184:185]
	s_load_dwordx4 s[8:11], s[8:9], 0x0
	v_mov_b32_e32 v90, 0xb40
	s_movk_i32 s16, 0x5000
	s_movk_i32 s17, 0x7000
	s_waitcnt lgkmcnt(0)
	v_mad_u64_u32 v[2:3], s[6:7], s10, v182, 0
	v_mad_u64_u32 v[4:5], s[6:7], s8, v186, 0
	v_mov_b32_e32 v6, v3
	v_mov_b32_e32 v8, v5
	v_mad_u64_u32 v[6:7], s[6:7], s11, v182, v[6:7]
	v_mov_b32_e32 v3, v6
	v_mad_u64_u32 v[6:7], s[6:7], s9, v186, v[8:9]
	s_movk_i32 s6, 0x1000
	s_nop 0
	v_add_co_u32_e32 v30, vcc, s6, v78
	s_movk_i32 s7, 0x2000
	s_nop 0
	v_addc_co_u32_e32 v31, vcc, 0, v79, vcc
	v_add_co_u32_e32 v32, vcc, s7, v78
	v_mov_b32_e32 v5, v6
	v_lshl_add_u64 v[0:1], v[2:3], 4, v[0:1]
	s_movk_i32 s10, 0x3000
	v_addc_co_u32_e32 v33, vcc, 0, v79, vcc
	v_lshl_add_u64 v[12:13], v[4:5], 4, v[0:1]
	v_add_co_u32_e32 v34, vcc, s10, v78
	global_load_dwordx4 v[0:3], v184, s[14:15]
	global_load_dwordx4 v[4:7], v[12:13], off
	s_movk_i32 s11, 0x4000
	v_addc_co_u32_e32 v35, vcc, 0, v79, vcc
	s_mulk_i32 s9, 0xb40
	v_mad_u64_u32 v[12:13], s[6:7], s8, v90, v[12:13]
	v_add_co_u32_e32 v42, vcc, s11, v78
	v_add_u32_e32 v13, s9, v13
	global_load_dwordx4 v[8:11], v184, s[14:15] offset:2880
	v_addc_co_u32_e32 v43, vcc, 0, v79, vcc
	global_load_dwordx4 v[14:17], v[30:31], off offset:1664
	global_load_dwordx4 v[18:21], v[32:33], off offset:448
	;; [unrolled: 1-line block ×4, first 2 shown]
	s_nop 0
	global_load_dwordx4 v[30:33], v[12:13], off
	global_load_dwordx4 v[34:37], v[42:43], off offset:896
	global_load_dwordx4 v[38:41], v[42:43], off offset:3776
	v_mad_u64_u32 v[12:13], s[6:7], s8, v90, v[12:13]
	v_add_u32_e32 v13, s9, v13
	global_load_dwordx4 v[42:45], v[12:13], off
	v_mad_u64_u32 v[12:13], s[6:7], s8, v90, v[12:13]
	v_add_u32_e32 v13, s9, v13
	global_load_dwordx4 v[46:49], v[12:13], off
	;; [unrolled: 3-line block ×5, first 2 shown]
	v_mad_u64_u32 v[12:13], s[6:7], s8, v90, v[12:13]
	v_add_u32_e32 v13, s9, v13
	v_add_co_u32_e32 v74, vcc, s16, v78
	global_load_dwordx4 v[62:65], v[12:13], off
	v_mad_u64_u32 v[12:13], s[6:7], s8, v90, v[12:13]
	v_addc_co_u32_e32 v75, vcc, 0, v79, vcc
	v_add_u32_e32 v13, s9, v13
	v_add_co_u32_e32 v86, vcc, s17, v78
	global_load_dwordx4 v[66:69], v[12:13], off
	global_load_dwordx4 v[70:73], v[74:75], off offset:2560
	v_mad_u64_u32 v[12:13], s[6:7], s8, v90, v[12:13]
	v_addc_co_u32_e32 v87, vcc, 0, v79, vcc
	s_movk_i32 s6, 0x6000
	v_add_u32_e32 v13, s9, v13
	v_add_co_u32_e32 v88, vcc, s6, v78
	global_load_dwordx4 v[74:77], v[12:13], off
	s_nop 0
	v_addc_co_u32_e32 v89, vcc, 0, v79, vcc
	v_mad_u64_u32 v[12:13], s[6:7], s8, v90, v[12:13]
	global_load_dwordx4 v[78:81], v[88:89], off offset:1344
	global_load_dwordx4 v[82:85], v[86:87], off offset:128
	v_add_u32_e32 v13, s9, v13
	global_load_dwordx4 v[86:89], v[12:13], off
	s_waitcnt vmcnt(20)
	v_mul_f64 v[90:91], v[6:7], v[2:3]
	v_mul_f64 v[2:3], v[4:5], v[2:3]
	v_fmac_f64_e32 v[90:91], v[4:5], v[0:1]
	v_fma_f64 v[92:93], v[6:7], v[0:1], -v[2:3]
	ds_write_b128 v184, v[90:93]
	s_waitcnt vmcnt(14)
	v_mul_f64 v[0:1], v[32:33], v[10:11]
	v_mul_f64 v[2:3], v[30:31], v[10:11]
	v_fmac_f64_e32 v[0:1], v[30:31], v[8:9]
	v_fma_f64 v[2:3], v[32:33], v[8:9], -v[2:3]
	ds_write_b128 v184, v[0:3] offset:2880
	s_waitcnt vmcnt(11)
	v_mul_f64 v[0:1], v[44:45], v[16:17]
	v_mul_f64 v[2:3], v[42:43], v[16:17]
	v_fmac_f64_e32 v[0:1], v[42:43], v[14:15]
	v_fma_f64 v[2:3], v[44:45], v[14:15], -v[2:3]
	ds_write_b128 v184, v[0:3] offset:5760
	;; [unrolled: 6-line block ×10, first 2 shown]
.LBB0_3:
	s_or_b64 exec, exec, s[2:3]
	s_load_dwordx2 s[2:3], s[0:1], 0x20
	s_load_dwordx2 s[6:7], s[0:1], 0x8
	s_waitcnt lgkmcnt(0)
	s_barrier
	s_waitcnt lgkmcnt(0)
                                        ; implicit-def: $vgpr0_vgpr1
                                        ; implicit-def: $vgpr4_vgpr5
                                        ; implicit-def: $vgpr8_vgpr9
                                        ; implicit-def: $vgpr12_vgpr13
                                        ; implicit-def: $vgpr16_vgpr17
                                        ; implicit-def: $vgpr20_vgpr21
                                        ; implicit-def: $vgpr24_vgpr25
                                        ; implicit-def: $vgpr28_vgpr29
                                        ; implicit-def: $vgpr32_vgpr33
                                        ; implicit-def: $vgpr36_vgpr37
                                        ; implicit-def: $vgpr40_vgpr41
	s_and_saveexec_b64 s[0:1], s[4:5]
	s_cbranch_execz .LBB0_5
; %bb.4:
	ds_read_b128 v[0:3], v184
	ds_read_b128 v[4:7], v184 offset:2880
	ds_read_b128 v[8:11], v184 offset:5760
	;; [unrolled: 1-line block ×10, first 2 shown]
.LBB0_5:
	s_or_b64 exec, exec, s[0:1]
	s_mov_b32 s18, 0xf8bb580b
	s_waitcnt lgkmcnt(0)
	v_add_f64 v[94:95], v[6:7], -v[42:43]
	s_mov_b32 s8, 0x8764f0ba
	s_mov_b32 s19, 0xbfe14ced
	;; [unrolled: 1-line block ×3, first 2 shown]
	v_add_f64 v[68:69], v[4:5], v[40:41]
	v_add_f64 v[80:81], v[4:5], -v[40:41]
	s_mov_b32 s9, 0x3feaeb8c
	v_mul_f64 v[64:65], v[94:95], s[18:19]
	v_add_f64 v[104:105], v[10:11], -v[38:39]
	s_mov_b32 s10, 0xd9c712b6
	s_mov_b32 s21, 0xbfed1bb4
	v_add_f64 v[70:71], v[6:7], v[42:43]
	v_mul_f64 v[66:67], v[80:81], s[18:19]
	v_fma_f64 v[44:45], s[8:9], v[68:69], v[64:65]
	v_add_f64 v[74:75], v[8:9], v[36:37]
	v_add_f64 v[90:91], v[8:9], -v[36:37]
	s_mov_b32 s11, 0x3fda9628
	v_mul_f64 v[72:73], v[104:105], s[20:21]
	s_mov_b32 s28, 0x43842ef
	v_add_f64 v[44:45], v[0:1], v[44:45]
	v_fma_f64 v[46:47], v[70:71], s[8:9], -v[66:67]
	v_add_f64 v[76:77], v[10:11], v[38:39]
	v_mul_f64 v[78:79], v[90:91], s[20:21]
	v_fma_f64 v[48:49], s[10:11], v[74:75], v[72:73]
	v_add_f64 v[110:111], v[14:15], -v[34:35]
	s_mov_b32 s16, 0x640f44db
	s_mov_b32 s29, 0xbfefac9e
	v_add_f64 v[46:47], v[2:3], v[46:47]
	v_add_f64 v[44:45], v[48:49], v[44:45]
	v_fma_f64 v[48:49], v[76:77], s[10:11], -v[78:79]
	v_add_f64 v[84:85], v[12:13], v[32:33]
	v_add_f64 v[100:101], v[12:13], -v[32:33]
	s_mov_b32 s17, 0xbfc2375f
	v_mul_f64 v[82:83], v[110:111], s[28:29]
	s_mov_b32 s26, 0xbb3a28a1
	v_add_f64 v[46:47], v[48:49], v[46:47]
	v_add_f64 v[86:87], v[14:15], v[34:35]
	v_mul_f64 v[88:89], v[100:101], s[28:29]
	v_fma_f64 v[48:49], s[16:17], v[84:85], v[82:83]
	v_add_f64 v[116:117], v[18:19], -v[30:31]
	s_mov_b32 s22, 0x7f775887
	s_mov_b32 s27, 0xbfe82f19
	v_add_f64 v[44:45], v[48:49], v[44:45]
	v_fma_f64 v[48:49], v[86:87], s[16:17], -v[88:89]
	v_add_f64 v[96:97], v[16:17], v[28:29]
	s_mov_b32 s23, 0xbfe4f49e
	v_mul_f64 v[92:93], v[116:117], s[26:27]
	v_add_f64 v[118:119], v[16:17], -v[28:29]
	s_mov_b32 s30, 0xfd768dbf
	v_add_f64 v[46:47], v[48:49], v[46:47]
	v_fma_f64 v[48:49], s[22:23], v[96:97], v[92:93]
	v_add_f64 v[102:103], v[18:19], v[30:31]
	v_mul_f64 v[98:99], v[118:119], s[26:27]
	s_mov_b32 s24, 0x9bcd5057
	s_mov_b32 s31, 0xbfd207e7
	v_add_f64 v[120:121], v[22:23], -v[26:27]
	v_add_f64 v[44:45], v[48:49], v[44:45]
	v_fma_f64 v[48:49], v[102:103], s[22:23], -v[98:99]
	s_mov_b32 s25, 0xbfeeb42a
	v_add_f64 v[108:109], v[20:21], v[24:25]
	v_mul_f64 v[106:107], v[120:121], s[30:31]
	v_add_f64 v[122:123], v[20:21], -v[24:25]
	v_add_f64 v[46:47], v[48:49], v[46:47]
	v_fma_f64 v[48:49], s[24:25], v[108:109], v[106:107]
	v_add_f64 v[114:115], v[22:23], v[26:27]
	v_mul_f64 v[112:113], v[122:123], s[30:31]
	v_add_f64 v[52:53], v[48:49], v[44:45]
	v_fma_f64 v[44:45], v[114:115], s[24:25], -v[112:113]
	v_add_f64 v[54:55], v[44:45], v[46:47]
	v_mul_lo_u16_e32 v183, 11, v186
	s_barrier
	s_and_saveexec_b64 s[0:1], s[4:5]
	s_cbranch_execz .LBB0_7
; %bb.6:
	v_mul_f64 v[58:59], v[70:71], s[24:25]
	s_mov_b32 s35, 0x3fd207e7
	s_mov_b32 s34, s30
	v_mul_f64 v[56:57], v[76:77], s[8:9]
	v_fma_f64 v[60:61], s[34:35], v[80:81], v[58:59]
	v_mul_f64 v[50:51], v[86:87], s[22:23]
	s_mov_b32 s39, 0x3fe82f19
	s_mov_b32 s38, s26
	v_fma_f64 v[46:47], s[18:19], v[90:91], v[56:57]
	v_add_f64 v[60:61], v[2:3], v[60:61]
	v_mul_f64 v[48:49], v[102:103], s[10:11]
	v_add_f64 v[46:47], v[46:47], v[60:61]
	v_fma_f64 v[60:61], s[38:39], v[100:101], v[50:51]
	v_fma_f64 v[44:45], s[20:21], v[118:119], v[48:49]
	v_add_f64 v[46:47], v[60:61], v[46:47]
	s_mov_b32 s37, 0x3fe14ced
	s_mov_b32 s36, s18
	v_mul_f64 v[60:61], v[94:95], s[30:31]
	v_add_f64 v[44:45], v[44:45], v[46:47]
	v_fma_f64 v[46:47], s[24:25], v[68:69], v[60:61]
	v_mul_f64 v[62:63], v[104:105], s[36:37]
	v_fmac_f64_e32 v[58:59], s[30:31], v[80:81]
	v_add_f64 v[46:47], v[0:1], v[46:47]
	v_fma_f64 v[124:125], s[8:9], v[74:75], v[62:63]
	v_fmac_f64_e32 v[56:57], s[36:37], v[90:91]
	v_add_f64 v[58:59], v[2:3], v[58:59]
	v_add_f64 v[46:47], v[124:125], v[46:47]
	v_mul_f64 v[124:125], v[110:111], s[26:27]
	s_mov_b32 s43, 0x3fed1bb4
	s_mov_b32 s42, s20
	v_add_f64 v[56:57], v[56:57], v[58:59]
	v_fmac_f64_e32 v[50:51], s[26:27], v[100:101]
	v_fma_f64 v[126:127], s[22:23], v[84:85], v[124:125]
	v_add_f64 v[50:51], v[50:51], v[56:57]
	v_fmac_f64_e32 v[48:49], s[42:43], v[118:119]
	v_fma_f64 v[56:57], v[68:69], s[24:25], -v[60:61]
	v_add_f64 v[46:47], v[126:127], v[46:47]
	v_mul_f64 v[126:127], v[116:117], s[42:43]
	v_add_f64 v[48:49], v[48:49], v[50:51]
	v_fma_f64 v[50:51], v[74:75], s[8:9], -v[62:63]
	v_add_f64 v[56:57], v[0:1], v[56:57]
	v_fma_f64 v[128:129], s[10:11], v[96:97], v[126:127]
	s_mov_b32 s41, 0x3fefac9e
	s_mov_b32 s40, s28
	v_mul_f64 v[130:131], v[114:115], s[16:17]
	v_add_f64 v[50:51], v[50:51], v[56:57]
	v_fma_f64 v[56:57], v[84:85], s[22:23], -v[124:125]
	v_add_f64 v[128:129], v[128:129], v[46:47]
	v_fma_f64 v[46:47], s[40:41], v[122:123], v[130:131]
	v_mul_f64 v[132:133], v[120:121], s[28:29]
	v_add_f64 v[56:57], v[56:57], v[50:51]
	v_fmac_f64_e32 v[130:131], s[28:29], v[122:123]
	v_fma_f64 v[58:59], v[96:97], s[10:11], -v[126:127]
	v_add_f64 v[50:51], v[130:131], v[48:49]
	v_fma_f64 v[48:49], v[108:109], s[16:17], -v[132:133]
	v_add_f64 v[56:57], v[58:59], v[56:57]
	v_mul_f64 v[62:63], v[70:71], s[22:23]
	v_add_f64 v[48:49], v[48:49], v[56:57]
	v_mul_f64 v[60:61], v[76:77], s[16:17]
	v_fma_f64 v[56:57], s[38:39], v[80:81], v[62:63]
	v_add_f64 v[56:57], v[2:3], v[56:57]
	v_fma_f64 v[58:59], s[28:29], v[90:91], v[60:61]
	v_mul_f64 v[124:125], v[86:87], s[8:9]
	v_add_f64 v[46:47], v[46:47], v[44:45]
	v_fma_f64 v[44:45], s[16:17], v[108:109], v[132:133]
	v_add_f64 v[56:57], v[58:59], v[56:57]
	v_fma_f64 v[58:59], s[36:37], v[100:101], v[124:125]
	v_mul_f64 v[126:127], v[102:103], s[24:25]
	v_add_f64 v[44:45], v[44:45], v[128:129]
	v_add_f64 v[56:57], v[58:59], v[56:57]
	v_fma_f64 v[58:59], s[34:35], v[118:119], v[126:127]
	v_mul_f64 v[128:129], v[94:95], s[26:27]
	v_add_f64 v[56:57], v[58:59], v[56:57]
	v_fma_f64 v[58:59], s[22:23], v[68:69], v[128:129]
	v_mul_f64 v[130:131], v[104:105], s[40:41]
	v_fmac_f64_e32 v[62:63], s[26:27], v[80:81]
	v_add_f64 v[58:59], v[0:1], v[58:59]
	v_fma_f64 v[132:133], s[16:17], v[74:75], v[130:131]
	v_fmac_f64_e32 v[60:61], s[40:41], v[90:91]
	v_add_f64 v[62:63], v[2:3], v[62:63]
	v_add_f64 v[58:59], v[132:133], v[58:59]
	v_mul_f64 v[132:133], v[110:111], s[18:19]
	v_add_f64 v[60:61], v[60:61], v[62:63]
	v_fmac_f64_e32 v[124:125], s[18:19], v[100:101]
	v_fma_f64 v[134:135], s[8:9], v[84:85], v[132:133]
	v_add_f64 v[60:61], v[124:125], v[60:61]
	v_fma_f64 v[124:125], v[68:69], s[22:23], -v[128:129]
	v_add_f64 v[58:59], v[134:135], v[58:59]
	v_mul_f64 v[134:135], v[116:117], s[30:31]
	v_fma_f64 v[62:63], v[74:75], s[16:17], -v[130:131]
	v_add_f64 v[124:125], v[0:1], v[124:125]
	v_fma_f64 v[136:137], s[24:25], v[96:97], v[134:135]
	v_mul_f64 v[138:139], v[114:115], s[10:11]
	v_fmac_f64_e32 v[126:127], s[30:31], v[118:119]
	v_add_f64 v[62:63], v[62:63], v[124:125]
	v_fma_f64 v[124:125], v[84:85], s[8:9], -v[132:133]
	v_add_f64 v[136:137], v[136:137], v[58:59]
	v_fma_f64 v[58:59], s[20:21], v[122:123], v[138:139]
	v_mul_f64 v[140:141], v[120:121], s[42:43]
	v_add_f64 v[60:61], v[126:127], v[60:61]
	v_add_f64 v[62:63], v[124:125], v[62:63]
	v_fma_f64 v[124:125], v[96:97], s[24:25], -v[134:135]
	v_fmac_f64_e32 v[138:139], s[42:43], v[122:123]
	v_add_f64 v[124:125], v[124:125], v[62:63]
	v_add_f64 v[62:63], v[138:139], v[60:61]
	v_fma_f64 v[60:61], v[108:109], s[10:11], -v[140:141]
	v_mul_f64 v[128:129], v[70:71], s[16:17]
	v_add_f64 v[60:61], v[60:61], v[124:125]
	v_fma_f64 v[124:125], s[40:41], v[80:81], v[128:129]
	v_mul_f64 v[130:131], v[76:77], s[24:25]
	v_add_f64 v[124:125], v[2:3], v[124:125]
	v_fma_f64 v[126:127], s[30:31], v[90:91], v[130:131]
	;; [unrolled: 3-line block ×3, first 2 shown]
	v_add_f64 v[124:125], v[126:127], v[124:125]
	v_fma_f64 v[126:127], s[20:21], v[100:101], v[132:133]
	v_mul_f64 v[134:135], v[102:103], s[8:9]
	v_add_f64 v[56:57], v[56:57], v[136:137]
	v_add_f64 v[124:125], v[126:127], v[124:125]
	v_fma_f64 v[126:127], s[36:37], v[118:119], v[134:135]
	v_mul_f64 v[136:137], v[94:95], s[28:29]
	v_add_f64 v[124:125], v[126:127], v[124:125]
	v_fma_f64 v[126:127], s[16:17], v[68:69], v[136:137]
	v_mul_f64 v[138:139], v[104:105], s[34:35]
	v_fmac_f64_e32 v[128:129], s[28:29], v[80:81]
	v_add_f64 v[126:127], v[0:1], v[126:127]
	v_fma_f64 v[140:141], s[24:25], v[74:75], v[138:139]
	v_fmac_f64_e32 v[130:131], s[34:35], v[90:91]
	v_add_f64 v[128:129], v[2:3], v[128:129]
	v_add_f64 v[126:127], v[140:141], v[126:127]
	v_mul_f64 v[140:141], v[110:111], s[42:43]
	v_add_f64 v[128:129], v[130:131], v[128:129]
	v_fmac_f64_e32 v[132:133], s[42:43], v[100:101]
	v_fma_f64 v[142:143], s[10:11], v[84:85], v[140:141]
	v_add_f64 v[128:129], v[132:133], v[128:129]
	v_fma_f64 v[132:133], v[68:69], s[16:17], -v[136:137]
	v_add_f64 v[126:127], v[142:143], v[126:127]
	v_mul_f64 v[142:143], v[116:117], s[18:19]
	v_fma_f64 v[130:131], v[74:75], s[24:25], -v[138:139]
	v_add_f64 v[132:133], v[0:1], v[132:133]
	v_fma_f64 v[144:145], s[8:9], v[96:97], v[142:143]
	v_mul_f64 v[146:147], v[114:115], s[22:23]
	v_fmac_f64_e32 v[134:135], s[18:19], v[118:119]
	v_add_f64 v[130:131], v[130:131], v[132:133]
	v_fma_f64 v[132:133], v[84:85], s[10:11], -v[140:141]
	v_add_f64 v[144:145], v[144:145], v[126:127]
	v_fma_f64 v[126:127], s[38:39], v[122:123], v[146:147]
	v_mul_f64 v[148:149], v[120:121], s[26:27]
	v_add_f64 v[128:129], v[134:135], v[128:129]
	v_add_f64 v[130:131], v[132:133], v[130:131]
	v_fma_f64 v[132:133], v[96:97], s[8:9], -v[142:143]
	v_fmac_f64_e32 v[146:147], s[26:27], v[122:123]
	v_add_f64 v[132:133], v[132:133], v[130:131]
	v_add_f64 v[130:131], v[146:147], v[128:129]
	v_fma_f64 v[128:129], v[108:109], s[22:23], -v[148:149]
	v_mul_f64 v[136:137], v[70:71], s[10:11]
	v_add_f64 v[128:129], v[128:129], v[132:133]
	v_fma_f64 v[132:133], s[42:43], v[80:81], v[136:137]
	v_mul_f64 v[138:139], v[76:77], s[22:23]
	v_add_f64 v[132:133], v[2:3], v[132:133]
	v_fma_f64 v[134:135], s[38:39], v[90:91], v[138:139]
	;; [unrolled: 3-line block ×5, first 2 shown]
	v_fma_f64 v[94:95], v[68:69], s[10:11], -v[94:95]
	v_mul_f64 v[68:69], v[68:69], s[8:9]
	v_mul_f64 v[70:71], v[70:71], s[8:9]
	v_fmac_f64_e32 v[136:137], s[20:21], v[80:81]
	v_add_f64 v[66:67], v[66:67], v[70:71]
	v_add_f64 v[64:65], v[68:69], -v[64:65]
	v_add_f64 v[126:127], v[126:127], v[124:125]
	v_fma_f64 v[124:125], s[22:23], v[108:109], v[148:149]
	v_mul_f64 v[104:105], v[104:105], s[26:27]
	v_add_f64 v[134:135], v[0:1], v[134:135]
	v_add_f64 v[80:81], v[2:3], v[136:137]
	;; [unrolled: 1-line block ×8, first 2 shown]
	v_fma_f64 v[144:145], s[22:23], v[74:75], v[104:105]
	v_mul_f64 v[110:111], v[110:111], s[34:35]
	v_fmac_f64_e32 v[138:139], s[26:27], v[90:91]
	v_add_f64 v[2:3], v[2:3], v[10:11]
	v_add_f64 v[0:1], v[0:1], v[8:9]
	;; [unrolled: 1-line block ×3, first 2 shown]
	v_fma_f64 v[144:145], s[24:25], v[84:85], v[110:111]
	v_mul_f64 v[116:117], v[116:117], s[40:41]
	v_fmac_f64_e32 v[140:141], s[34:35], v[100:101]
	v_add_f64 v[80:81], v[138:139], v[80:81]
	v_fma_f64 v[90:91], v[74:75], s[22:23], -v[104:105]
	v_add_f64 v[2:3], v[2:3], v[14:15]
	v_add_f64 v[0:1], v[0:1], v[12:13]
	;; [unrolled: 1-line block ×3, first 2 shown]
	v_fma_f64 v[144:145], s[16:17], v[96:97], v[116:117]
	v_mul_f64 v[146:147], v[114:115], s[8:9]
	v_fmac_f64_e32 v[142:143], s[40:41], v[118:119]
	v_add_f64 v[80:81], v[140:141], v[80:81]
	v_add_f64 v[90:91], v[90:91], v[94:95]
	v_fma_f64 v[94:95], v[84:85], s[24:25], -v[110:111]
	v_add_f64 v[2:3], v[2:3], v[18:19]
	v_add_f64 v[0:1], v[0:1], v[16:17]
	;; [unrolled: 1-line block ×3, first 2 shown]
	v_fma_f64 v[134:135], s[18:19], v[122:123], v[146:147]
	v_mul_f64 v[120:121], v[120:121], s[36:37]
	v_fmac_f64_e32 v[146:147], s[36:37], v[122:123]
	v_add_f64 v[80:81], v[142:143], v[80:81]
	v_add_f64 v[90:91], v[94:95], v[90:91]
	v_fma_f64 v[94:95], v[96:97], s[16:17], -v[116:117]
	v_add_f64 v[2:3], v[2:3], v[22:23]
	v_add_f64 v[0:1], v[0:1], v[20:21]
	;; [unrolled: 1-line block ×4, first 2 shown]
	v_fma_f64 v[80:81], v[108:109], s[8:9], -v[120:121]
	v_mul_f64 v[74:75], v[74:75], s[10:11]
	v_mul_f64 v[76:77], v[76:77], s[10:11]
	v_add_f64 v[2:3], v[2:3], v[26:27]
	v_add_f64 v[0:1], v[0:1], v[24:25]
	;; [unrolled: 1-line block ×3, first 2 shown]
	v_mul_f64 v[80:81], v[84:85], s[16:17]
	v_mul_f64 v[84:85], v[86:87], s[16:17]
	v_add_f64 v[76:77], v[78:79], v[76:77]
	v_add_f64 v[72:73], v[74:75], -v[72:73]
	v_add_f64 v[2:3], v[2:3], v[30:31]
	v_add_f64 v[0:1], v[0:1], v[28:29]
	v_mul_f64 v[86:87], v[96:97], s[22:23]
	v_mul_f64 v[90:91], v[102:103], s[22:23]
	v_add_f64 v[84:85], v[88:89], v[84:85]
	v_add_f64 v[66:67], v[76:77], v[66:67]
	v_add_f64 v[78:79], v[80:81], -v[82:83]
	v_add_f64 v[64:65], v[72:73], v[64:65]
	v_add_f64 v[2:3], v[2:3], v[34:35]
	;; [unrolled: 1-line block ×3, first 2 shown]
	v_mul_f64 v[94:95], v[108:109], s[24:25]
	v_mul_f64 v[96:97], v[114:115], s[24:25]
	v_add_f64 v[90:91], v[98:99], v[90:91]
	v_add_f64 v[66:67], v[84:85], v[66:67]
	v_add_f64 v[76:77], v[86:87], -v[92:93]
	v_add_f64 v[64:65], v[78:79], v[64:65]
	v_add_f64 v[2:3], v[2:3], v[38:39]
	;; [unrolled: 1-line block ×4, first 2 shown]
	v_fma_f64 v[132:133], s[8:9], v[108:109], v[120:121]
	v_add_f64 v[96:97], v[112:113], v[96:97]
	v_add_f64 v[66:67], v[90:91], v[66:67]
	v_add_f64 v[70:71], v[94:95], -v[106:107]
	v_add_f64 v[64:65], v[76:77], v[64:65]
	v_add_f64 v[2:3], v[2:3], v[42:43]
	;; [unrolled: 1-line block ×3, first 2 shown]
	v_lshlrev_b32_e32 v4, 4, v183
	v_add_f64 v[132:133], v[132:133], v[144:145]
	v_add_f64 v[66:67], v[96:97], v[66:67]
	;; [unrolled: 1-line block ×3, first 2 shown]
	ds_write_b128 v4, v[0:3]
	ds_write_b128 v4, v[64:67] offset:16
	ds_write_b128 v4, v[116:119] offset:32
	;; [unrolled: 1-line block ×10, first 2 shown]
.LBB0_7:
	s_or_b64 exec, exec, s[0:1]
	s_mov_b64 s[0:1], 0xc6
	v_lshl_add_u64 v[110:111], v[186:187], 0, s[0:1]
	s_mov_b64 s[0:1], 0x18c
	v_lshl_add_u64 v[108:109], v[186:187], 0, s[0:1]
	s_mov_b64 s[0:1], 0x318
	v_lshl_add_u64 v[0:1], v[186:187], 0, s[0:1]
	s_movk_i32 s0, 0x75
	v_mul_lo_u16_sdwa v1, v186, s0 dst_sel:DWORD dst_unused:UNUSED_PAD src0_sel:BYTE_0 src1_sel:DWORD
	s_mov_b32 s0, 0xba2f
	v_mul_u32_u24_sdwa v28, v108, s0 dst_sel:DWORD dst_unused:UNUSED_PAD src0_sel:WORD_0 src1_sel:DWORD
	v_add_u16_e32 v109, 0x252, v186
	v_lshrrev_b32_e32 v4, 19, v28
	v_mul_u32_u24_e32 v36, 0xba2f, v109
	v_mul_lo_u16_e32 v3, 11, v4
	v_lshrrev_b32_e32 v6, 19, v36
	v_sub_u16_e32 v5, v108, v3
	v_mul_lo_u16_e32 v7, 11, v6
	v_lshlrev_b32_e32 v3, 4, v5
	v_sub_u16_e32 v7, v109, v7
	s_load_dwordx4 s[8:11], s[2:3], 0x0
	s_waitcnt lgkmcnt(0)
	s_barrier
	v_lshlrev_b32_e32 v8, 4, v7
	global_load_dwordx4 v[78:81], v3, s[6:7]
	global_load_dwordx4 v[16:19], v8, s[6:7]
	v_mul_u32_u24_sdwa v3, v0, s0 dst_sel:DWORD dst_unused:UNUSED_PAD src0_sel:WORD_0 src1_sel:DWORD
	v_lshrrev_b32_e32 v8, 19, v3
	v_mul_lo_u16_e32 v3, 11, v8
	v_sub_u16_sdwa v2, v186, v1 dst_sel:DWORD dst_unused:UNUSED_PAD src0_sel:DWORD src1_sel:BYTE_1
	v_sub_u16_e32 v9, v0, v3
	v_lshrrev_b16_e32 v2, 1, v2
	v_lshlrev_b32_e32 v0, 4, v9
	global_load_dwordx4 v[82:85], v0, s[6:7]
	v_and_b32_e32 v0, 0x7f, v2
	v_add_u16_sdwa v0, v0, v1 dst_sel:DWORD dst_unused:UNUSED_PAD src0_sel:DWORD src1_sel:BYTE_1
	v_lshrrev_b16_e32 v10, 3, v0
	v_mul_lo_u16_e32 v0, 11, v10
	v_mul_u32_u24_sdwa v20, v110, s0 dst_sel:DWORD dst_unused:UNUSED_PAD src0_sel:WORD_0 src1_sel:DWORD
	v_sub_u16_e32 v0, v186, v0
	v_lshrrev_b32_e32 v12, 19, v20
	v_and_b32_e32 v11, 0xff, v0
	v_mul_lo_u16_e32 v1, 11, v12
	v_lshlrev_b32_e32 v0, 4, v11
	v_sub_u16_e32 v13, v110, v1
	global_load_dwordx4 v[90:93], v0, s[6:7]
	v_lshlrev_b32_e32 v0, 4, v13
	global_load_dwordx4 v[86:89], v0, s[6:7]
	v_mov_b32_e32 v0, 4
	v_lshlrev_b32_sdwa v187, v0, v186 dst_sel:DWORD dst_unused:UNUSED_PAD src0_sel:DWORD src1_sel:WORD_0
	ds_read_b128 v[22:25], v187
	ds_read_b128 v[30:33], v187 offset:3168
	ds_read_b128 v[38:41], v187 offset:19008
	;; [unrolled: 1-line block ×9, first 2 shown]
	s_waitcnt lgkmcnt(0)
	s_barrier
	s_movk_i32 s18, 0x42
	v_cmp_gt_u16_e64 s[2:3], s18, v186
	s_waitcnt vmcnt(4)
	v_mul_f64 v[0:1], v[44:45], v[80:81]
	v_fma_f64 v[0:1], v[42:43], v[78:79], -v[0:1]
	v_mul_f64 v[2:3], v[42:43], v[80:81]
	s_waitcnt vmcnt(3)
	v_mul_f64 v[26:27], v[62:63], v[18:19]
	v_add_f64 v[42:43], v[46:47], -v[0:1]
	v_mul_f64 v[34:35], v[60:61], v[18:19]
	v_fma_f64 v[26:27], v[60:61], v[16:17], -v[26:27]
	v_fmac_f64_e32 v[34:35], v[62:63], v[16:17]
	v_fmac_f64_e32 v[2:3], v[44:45], v[78:79]
	s_waitcnt vmcnt(2)
	v_mul_f64 v[50:51], v[74:75], v[84:85]
	v_mul_f64 v[76:77], v[72:73], v[84:85]
	v_add_f64 v[44:45], v[48:49], -v[2:3]
	v_fma_f64 v[50:51], v[72:73], v[82:83], -v[50:51]
	v_accvgpr_write_b32 a12, v82
	v_fmac_f64_e32 v[76:77], v[74:75], v[82:83]
	v_accvgpr_write_b32 a13, v83
	v_accvgpr_write_b32 a14, v84
	;; [unrolled: 1-line block ×3, first 2 shown]
	v_add_f64 v[84:85], v[68:69], -v[50:51]
	v_accvgpr_write_b32 a8, v78
	v_fma_f64 v[46:47], v[46:47], 2.0, -v[42:43]
	s_waitcnt vmcnt(1)
	v_mul_f64 v[0:1], v[66:67], v[92:93]
	v_fma_f64 v[0:1], v[64:65], v[90:91], -v[0:1]
	s_waitcnt vmcnt(0)
	v_mul_f64 v[60:61], v[40:41], v[88:89]
	v_mul_f64 v[62:63], v[38:39], v[88:89]
	v_fma_f64 v[60:61], v[38:39], v[86:87], -v[60:61]
	v_add_f64 v[38:39], v[22:23], -v[0:1]
	v_mul_u32_u24_e32 v0, 22, v10
	v_add_lshl_u32 v238, v0, v11, 4
	v_mad_legacy_u16 v0, v12, 22, v13
	v_mul_f64 v[2:3], v[64:65], v[92:93]
	v_lshlrev_b32_e32 v239, 4, v0
	v_mad_legacy_u16 v0, v4, 22, v5
	v_fmac_f64_e32 v[2:3], v[66:67], v[90:91]
	v_accvgpr_write_b32 a16, v86
	v_fmac_f64_e32 v[62:63], v[40:41], v[86:87]
	v_lshlrev_b32_e32 v242, 4, v0
	v_mad_legacy_u16 v0, v6, 22, v7
	v_accvgpr_write_b32 a17, v87
	v_accvgpr_write_b32 a18, v88
	;; [unrolled: 1-line block ×3, first 2 shown]
	v_add_f64 v[40:41], v[24:25], -v[2:3]
	v_add_f64 v[60:61], v[30:31], -v[60:61]
	;; [unrolled: 1-line block ×6, first 2 shown]
	v_lshlrev_b32_e32 v243, 4, v0
	v_mad_legacy_u16 v0, v8, 22, v9
	v_fma_f64 v[48:49], v[48:49], 2.0, -v[44:45]
	v_accvgpr_write_b32 a20, v90
	v_fma_f64 v[22:23], v[22:23], 2.0, -v[38:39]
	v_fma_f64 v[24:25], v[24:25], 2.0, -v[40:41]
	;; [unrolled: 1-line block ×8, first 2 shown]
	v_lshlrev_b32_e32 v254, 4, v0
	v_accvgpr_write_b32 a9, v79
	v_accvgpr_write_b32 a10, v80
	;; [unrolled: 1-line block ×6, first 2 shown]
	ds_write_b128 v238, v[22:25]
	ds_write_b128 v238, v[38:41] offset:176
	ds_write_b128 v239, v[30:33]
	ds_write_b128 v239, v[60:63] offset:176
	;; [unrolled: 2-line block ×5, first 2 shown]
	s_waitcnt lgkmcnt(0)
	s_barrier
	ds_read_b128 v[64:67], v187
	ds_read_b128 v[60:63], v187 offset:3168
	ds_read_b128 v[68:71], v187 offset:21120
	;; [unrolled: 1-line block ×8, first 2 shown]
                                        ; implicit-def: $vgpr76_vgpr77
	s_and_saveexec_b64 s[0:1], s[2:3]
	s_cbranch_execz .LBB0_9
; %bb.8:
	ds_read_b128 v[84:87], v187 offset:9504
	ds_read_b128 v[52:55], v187 offset:20064
	;; [unrolled: 1-line block ×3, first 2 shown]
.LBB0_9:
	s_or_b64 exec, exec, s[0:1]
	v_lshrrev_b32_e32 v4, 20, v20
	v_mul_lo_u16_e32 v0, 22, v4
	v_sub_u16_e32 v5, v110, v0
	v_lshlrev_b16_e32 v0, 5, v5
	v_mov_b32_e32 v1, 0
	v_lshrrev_b32_e32 v6, 20, v28
	v_lshl_add_u64 v[2:3], s[6:7], 0, v[0:1]
	v_mul_lo_u16_e32 v0, 22, v6
	v_sub_u16_e32 v7, v108, v0
	v_lshlrev_b16_e32 v0, 5, v7
	v_lshrrev_b32_e32 v234, 20, v36
	global_load_dwordx4 v[20:23], v[2:3], off offset:176
	global_load_dwordx4 v[10:13], v[2:3], off offset:192
	v_lshl_add_u64 v[2:3], s[6:7], 0, v[0:1]
	v_mul_lo_u16_e32 v0, 22, v234
	v_sub_u16_e32 v235, v109, v0
	v_lshlrev_b16_e32 v0, 5, v235
	v_lshl_add_u64 v[0:1], s[6:7], 0, v[0:1]
	global_load_dwordx4 v[32:35], v[2:3], off offset:176
	global_load_dwordx4 v[28:31], v[2:3], off offset:192
	;; [unrolled: 1-line block ×4, first 2 shown]
	v_lshrrev_b16_e32 v0, 1, v186
	v_and_b32_e32 v0, 0x7f, v0
	v_mul_lo_u16_e32 v0, 0xbb, v0
	v_lshrrev_b16_e32 v8, 11, v0
	v_mul_lo_u16_e32 v0, 22, v8
	v_sub_u16_e32 v0, v186, v0
	v_and_b32_e32 v9, 0xff, v0
	v_lshlrev_b32_e32 v0, 5, v9
	global_load_dwordx4 v[48:51], v0, s[6:7] offset:176
	global_load_dwordx4 v[44:47], v0, s[6:7] offset:192
	s_mov_b32 s0, 0xe8584caa
	s_mov_b32 s1, 0x3febb67a
	;; [unrolled: 1-line block ×4, first 2 shown]
	s_waitcnt lgkmcnt(0)
	s_barrier
	s_waitcnt vmcnt(7)
	v_mul_f64 v[2:3], v[96:97], v[22:23]
	s_waitcnt vmcnt(6)
	v_mul_f64 v[102:103], v[92:93], v[12:13]
	v_fmac_f64_e32 v[2:3], v[98:99], v[20:21]
	v_fmac_f64_e32 v[102:103], v[94:95], v[10:11]
	v_mul_f64 v[0:1], v[98:99], v[22:23]
	v_mul_f64 v[100:101], v[94:95], v[12:13]
	v_add_f64 v[112:113], v[2:3], -v[102:103]
	v_add_f64 v[114:115], v[62:63], v[2:3]
	v_add_f64 v[2:3], v[2:3], v[102:103]
	v_fma_f64 v[0:1], v[96:97], v[20:21], -v[0:1]
	v_fma_f64 v[92:93], v[92:93], v[10:11], -v[100:101]
	s_waitcnt vmcnt(5)
	v_mul_f64 v[94:95], v[90:91], v[34:35]
	v_mul_f64 v[96:97], v[88:89], v[34:35]
	s_waitcnt vmcnt(4)
	v_mul_f64 v[98:99], v[82:83], v[30:31]
	v_fmac_f64_e32 v[62:63], -0.5, v[2:3]
	v_mul_f64 v[100:101], v[80:81], v[30:31]
	s_waitcnt vmcnt(1)
	v_mul_f64 v[116:117], v[74:75], v[50:51]
	v_mul_f64 v[118:119], v[72:73], v[50:51]
	s_waitcnt vmcnt(0)
	v_mul_f64 v[120:121], v[70:71], v[46:47]
	v_mul_f64 v[122:123], v[68:69], v[46:47]
	v_fma_f64 v[2:3], v[72:73], v[48:49], -v[116:117]
	v_fma_f64 v[88:89], v[88:89], v[32:33], -v[94:95]
	v_fmac_f64_e32 v[96:97], v[90:91], v[32:33]
	v_fma_f64 v[90:91], v[80:81], v[28:29], -v[98:99]
	v_mul_f64 v[80:81], v[54:55], v[42:43]
	v_add_f64 v[94:95], v[60:61], v[0:1]
	v_add_f64 v[104:105], v[0:1], v[92:93]
	v_fmac_f64_e32 v[118:119], v[74:75], v[48:49]
	v_fma_f64 v[72:73], v[68:69], v[44:45], -v[120:121]
	v_fmac_f64_e32 v[122:123], v[70:71], v[44:45]
	v_add_f64 v[70:71], v[64:65], v[2:3]
	v_add_f64 v[0:1], v[0:1], -v[92:93]
	v_fmac_f64_e32 v[100:101], v[82:83], v[28:29]
	v_mul_f64 v[82:83], v[78:79], v[38:39]
	v_fma_f64 v[124:125], v[52:53], v[40:41], -v[80:81]
	v_add_f64 v[74:75], v[2:3], v[72:73]
	v_add_f64 v[80:81], v[118:119], v[122:123]
	v_add_f64 v[2:3], v[2:3], -v[72:73]
	v_add_f64 v[72:73], v[70:71], v[72:73]
	v_fma_f64 v[70:71], s[16:17], v[0:1], v[62:63]
	v_fmac_f64_e32 v[62:63], s[0:1], v[0:1]
	v_add_f64 v[0:1], v[56:57], v[88:89]
	v_mul_f64 v[106:107], v[76:77], v[38:39]
	v_fma_f64 v[126:127], v[76:77], v[36:37], -v[82:83]
	v_add_f64 v[76:77], v[66:67], v[118:119]
	v_fmac_f64_e32 v[66:67], -0.5, v[80:81]
	v_add_f64 v[80:81], v[0:1], v[90:91]
	v_add_f64 v[0:1], v[88:89], v[90:91]
	v_fmac_f64_e32 v[56:57], -0.5, v[0:1]
	v_add_f64 v[0:1], v[96:97], -v[100:101]
	v_mul_f64 v[98:99], v[52:53], v[42:43]
	v_add_f64 v[52:53], v[94:95], v[92:93]
	v_fma_f64 v[92:93], s[0:1], v[0:1], v[56:57]
	v_fmac_f64_e32 v[56:57], s[16:17], v[0:1]
	v_add_f64 v[0:1], v[58:59], v[96:97]
	v_add_f64 v[82:83], v[0:1], v[100:101]
	;; [unrolled: 1-line block ×3, first 2 shown]
	v_fmac_f64_e32 v[58:59], -0.5, v[0:1]
	v_add_f64 v[0:1], v[88:89], -v[90:91]
	v_fma_f64 v[94:95], s[16:17], v[0:1], v[58:59]
	v_fmac_f64_e32 v[58:59], s[0:1], v[0:1]
	v_add_f64 v[0:1], v[84:85], v[124:125]
	v_fmac_f64_e32 v[98:99], v[54:55], v[40:41]
	v_fmac_f64_e32 v[106:107], v[78:79], v[36:37]
	v_add_f64 v[88:89], v[0:1], v[126:127]
	v_add_f64 v[0:1], v[124:125], v[126:127]
	v_fmac_f64_e32 v[84:85], -0.5, v[0:1]
	v_add_f64 v[0:1], v[98:99], -v[106:107]
	v_fmac_f64_e32 v[60:61], -0.5, v[104:105]
	v_fma_f64 v[104:105], s[0:1], v[0:1], v[84:85]
	v_fmac_f64_e32 v[84:85], s[16:17], v[0:1]
	v_add_f64 v[0:1], v[86:87], v[98:99]
	v_add_f64 v[90:91], v[0:1], v[106:107]
	;; [unrolled: 1-line block ×3, first 2 shown]
	v_fmac_f64_e32 v[86:87], -0.5, v[0:1]
	v_add_f64 v[0:1], v[124:125], -v[126:127]
	v_fma_f64 v[106:107], s[16:17], v[0:1], v[86:87]
	v_fmac_f64_e32 v[86:87], s[0:1], v[0:1]
	v_mul_u32_u24_e32 v0, 0x42, v8
	v_add_lshl_u32 v255, v0, v9, 4
	v_mad_legacy_u16 v0, v4, s18, v5
	v_add_f64 v[54:55], v[114:115], v[102:103]
	v_fma_f64 v[68:69], s[0:1], v[112:113], v[60:61]
	v_fmac_f64_e32 v[60:61], s[16:17], v[112:113]
	v_add_f64 v[78:79], v[118:119], -v[122:123]
	v_fmac_f64_e32 v[64:65], -0.5, v[74:75]
	v_add_f64 v[74:75], v[76:77], v[122:123]
	v_lshlrev_b32_e32 v0, 4, v0
	v_fma_f64 v[76:77], s[0:1], v[78:79], v[64:65]
	v_fmac_f64_e32 v[64:65], s[16:17], v[78:79]
	v_fma_f64 v[78:79], s[16:17], v[2:3], v[66:67]
	v_fmac_f64_e32 v[66:67], s[0:1], v[2:3]
	ds_write_b128 v255, v[72:75]
	ds_write_b128 v255, v[76:79] offset:352
	ds_write_b128 v255, v[64:67] offset:704
	ds_write_b128 v0, v[52:55]
	ds_write_b128 v0, v[68:71] offset:352
	v_accvgpr_write_b32 a45, v0
	ds_write_b128 v0, v[60:63] offset:704
	v_mad_legacy_u16 v0, v6, s18, v7
	v_accvgpr_write_b32 a35, v23
	v_accvgpr_write_b32 a31, v13
	v_lshlrev_b32_e32 v0, 4, v0
	v_accvgpr_write_b32 a34, v22
	v_accvgpr_write_b32 a33, v21
	;; [unrolled: 1-line block ×7, first 2 shown]
	ds_write_b128 v0, v[80:83]
	ds_write_b128 v0, v[92:95] offset:352
	ds_write_b128 v0, v[56:59] offset:704
	s_and_saveexec_b64 s[0:1], s[2:3]
	s_cbranch_execz .LBB0_11
; %bb.10:
	v_mul_u32_u24_e32 v0, 0xba2f, v109
	v_lshrrev_b32_e32 v0, 20, v0
	s_movk_i32 s16, 0x42
	v_mad_legacy_u16 v0, v0, s16, v235
	v_lshlrev_b32_e32 v0, 4, v0
	ds_write_b128 v0, v[88:91]
	ds_write_b128 v0, v[104:107] offset:352
	ds_write_b128 v0, v[84:87] offset:704
.LBB0_11:
	s_or_b64 exec, exec, s[0:1]
	s_waitcnt lgkmcnt(0)
	s_barrier
	ds_read_b128 v[100:103], v187
	ds_read_b128 v[96:99], v187 offset:3168
	ds_read_b128 v[68:71], v187 offset:21120
	;; [unrolled: 1-line block ×8, first 2 shown]
	s_and_saveexec_b64 s[0:1], s[2:3]
	s_cbranch_execz .LBB0_13
; %bb.12:
	ds_read_b128 v[88:91], v187 offset:9504
	ds_read_b128 v[104:107], v187 offset:20064
	;; [unrolled: 1-line block ×3, first 2 shown]
.LBB0_13:
	s_or_b64 exec, exec, s[0:1]
	s_movk_i32 s0, 0xf9
	v_mul_lo_u16_sdwa v0, v186, s0 dst_sel:DWORD dst_unused:UNUSED_PAD src0_sel:BYTE_0 src1_sel:DWORD
	v_lshrrev_b16_e32 v4, 14, v0
	v_mul_lo_u16_e32 v0, 0x42, v4
	v_sub_u16_e32 v0, v186, v0
	v_and_b32_e32 v5, 0xff, v0
	v_lshlrev_b32_e32 v0, 5, v5
	global_load_dwordx4 v[60:63], v0, s[6:7] offset:896
	global_load_dwordx4 v[64:67], v0, s[6:7] offset:880
	s_mov_b32 s0, 0xf83f
	v_mul_u32_u24_sdwa v6, v110, s0 dst_sel:DWORD dst_unused:UNUSED_PAD src0_sel:WORD_0 src1_sel:DWORD
	v_lshrrev_b32_e32 v6, 22, v6
	v_mul_lo_u16_e32 v7, 0x42, v6
	v_sub_u16_e32 v7, v110, v7
	v_lshlrev_b16_e32 v110, 5, v7
	v_mov_b32_e32 v111, 0
	v_mul_u32_u24_sdwa v8, v108, s0 dst_sel:DWORD dst_unused:UNUSED_PAD src0_sel:WORD_0 src1_sel:DWORD
	v_lshrrev_b32_e32 v8, 22, v8
	v_mul_lo_u16_e32 v9, 0x42, v8
	v_sub_u16_e32 v9, v108, v9
	v_mul_u32_u24_e32 v10, 0xf83f, v109
	v_lshrrev_b32_e32 v10, 22, v10
	v_mul_lo_u16_e32 v10, 0x42, v10
	v_sub_u16_e32 v10, v109, v10
	s_mov_b32 s0, 0xe8584caa
	s_mov_b32 s1, 0x3febb67a
	;; [unrolled: 1-line block ×3, first 2 shown]
	s_waitcnt vmcnt(1) lgkmcnt(6)
	v_mul_f64 v[120:121], v[68:69], v[62:63]
	s_waitcnt vmcnt(0) lgkmcnt(4)
	v_mul_f64 v[0:1], v[74:75], v[66:67]
	v_fma_f64 v[0:1], v[72:73], v[64:65], -v[0:1]
	v_mul_f64 v[2:3], v[72:73], v[66:67]
	v_mul_f64 v[72:73], v[70:71], v[62:63]
	v_fma_f64 v[118:119], v[68:69], v[60:61], -v[72:73]
	v_lshl_add_u64 v[72:73], s[6:7], 0, v[110:111]
	v_fmac_f64_e32 v[2:3], v[74:75], v[64:65]
	v_fmac_f64_e32 v[120:121], v[70:71], v[60:61]
	global_load_dwordx4 v[68:71], v[72:73], off offset:896
	s_nop 0
	global_load_dwordx4 v[72:75], v[72:73], off offset:880
	v_lshlrev_b16_e32 v110, 5, v9
	s_waitcnt vmcnt(1)
	v_mul_f64 v[138:139], v[76:77], v[70:71]
	s_waitcnt vmcnt(0) lgkmcnt(2)
	v_mul_f64 v[112:113], v[82:83], v[74:75]
	v_fma_f64 v[122:123], v[80:81], v[72:73], -v[112:113]
	v_mul_f64 v[124:125], v[80:81], v[74:75]
	v_mul_f64 v[80:81], v[78:79], v[70:71]
	v_fma_f64 v[126:127], v[76:77], v[68:69], -v[80:81]
	v_lshl_add_u64 v[80:81], s[6:7], 0, v[110:111]
	v_fmac_f64_e32 v[124:125], v[82:83], v[72:73]
	v_fmac_f64_e32 v[138:139], v[78:79], v[68:69]
	global_load_dwordx4 v[76:79], v[80:81], off offset:896
	s_nop 0
	global_load_dwordx4 v[80:83], v[80:81], off offset:880
	v_lshlrev_b16_e32 v110, 5, v10
	s_waitcnt vmcnt(0) lgkmcnt(1)
	v_mul_f64 v[112:113], v[58:59], v[82:83]
	v_fma_f64 v[146:147], v[56:57], v[80:81], -v[112:113]
	v_mul_f64 v[56:57], v[56:57], v[82:83]
	v_fmac_f64_e32 v[56:57], v[58:59], v[80:81]
	s_waitcnt lgkmcnt(0)
	v_mul_f64 v[58:59], v[54:55], v[78:79]
	v_fma_f64 v[58:59], v[52:53], v[76:77], -v[58:59]
	v_mul_f64 v[52:53], v[52:53], v[78:79]
	v_fmac_f64_e32 v[52:53], v[54:55], v[76:77]
	v_lshl_add_u64 v[54:55], s[6:7], 0, v[110:111]
	global_load_dwordx4 v[12:15], v[54:55], off offset:896
	global_load_dwordx4 v[20:23], v[54:55], off offset:880
	s_barrier
	s_waitcnt vmcnt(1)
	v_accvgpr_write_b32 a39, v15
	s_waitcnt vmcnt(0)
	v_mul_f64 v[54:55], v[106:107], v[22:23]
	v_fma_f64 v[108:109], v[104:105], v[20:21], -v[54:55]
	v_mul_f64 v[54:55], v[86:87], v[14:15]
	v_mul_f64 v[112:113], v[104:105], v[22:23]
	v_fma_f64 v[104:105], v[84:85], v[12:13], -v[54:55]
	v_add_f64 v[54:55], v[100:101], v[0:1]
	v_add_f64 v[114:115], v[54:55], v[118:119]
	;; [unrolled: 1-line block ×3, first 2 shown]
	v_fmac_f64_e32 v[100:101], -0.5, v[54:55]
	v_add_f64 v[54:55], v[2:3], -v[120:121]
	v_fma_f64 v[128:129], s[0:1], v[54:55], v[100:101]
	v_fmac_f64_e32 v[100:101], s[16:17], v[54:55]
	v_add_f64 v[54:55], v[102:103], v[2:3]
	v_add_f64 v[2:3], v[2:3], v[120:121]
	v_fmac_f64_e32 v[102:103], -0.5, v[2:3]
	v_add_f64 v[0:1], v[0:1], -v[118:119]
	v_fma_f64 v[130:131], s[16:17], v[0:1], v[102:103]
	v_fmac_f64_e32 v[102:103], s[0:1], v[0:1]
	v_add_f64 v[0:1], v[96:97], v[122:123]
	v_add_f64 v[132:133], v[0:1], v[126:127]
	v_add_f64 v[0:1], v[122:123], v[126:127]
	v_fmac_f64_e32 v[96:97], -0.5, v[0:1]
	v_add_f64 v[0:1], v[124:125], -v[138:139]
	v_fma_f64 v[136:137], s[0:1], v[0:1], v[96:97]
	v_fmac_f64_e32 v[96:97], s[16:17], v[0:1]
	v_add_f64 v[0:1], v[98:99], v[124:125]
	;; [unrolled: 7-line block ×4, first 2 shown]
	v_add_f64 v[142:143], v[0:1], v[52:53]
	v_add_f64 v[0:1], v[56:57], v[52:53]
	v_mul_f64 v[84:85], v[84:85], v[14:15]
	v_fmac_f64_e32 v[94:95], -0.5, v[0:1]
	v_add_f64 v[0:1], v[146:147], -v[58:59]
	v_fmac_f64_e32 v[112:113], v[106:107], v[20:21]
	v_fmac_f64_e32 v[84:85], v[86:87], v[12:13]
	v_fma_f64 v[146:147], s[16:17], v[0:1], v[94:95]
	v_fmac_f64_e32 v[94:95], s[0:1], v[0:1]
	v_add_f64 v[0:1], v[108:109], v[104:105]
	v_add_f64 v[116:117], v[54:55], v[120:121]
	v_fma_f64 v[120:121], -0.5, v[0:1], v[88:89]
	v_add_f64 v[0:1], v[112:113], -v[84:85]
	v_fma_f64 v[124:125], s[0:1], v[0:1], v[120:121]
	v_fmac_f64_e32 v[120:121], s[16:17], v[0:1]
	v_add_f64 v[0:1], v[112:113], v[84:85]
	v_fma_f64 v[122:123], -0.5, v[0:1], v[90:91]
	v_add_f64 v[0:1], v[108:109], -v[104:105]
	v_fma_f64 v[126:127], s[16:17], v[0:1], v[122:123]
	v_fmac_f64_e32 v[122:123], s[0:1], v[0:1]
	v_mul_u32_u24_e32 v0, 0xc6, v4
	s_movk_i32 s0, 0xc6
	v_add_lshl_u32 v0, v0, v5, 4
	ds_write_b128 v0, v[114:117]
	ds_write_b128 v0, v[128:131] offset:1056
	v_accvgpr_write_b32 a48, v0
	ds_write_b128 v0, v[100:103] offset:2112
	v_mad_legacy_u16 v0, v6, s0, v7
	v_lshlrev_b32_e32 v0, 4, v0
	ds_write_b128 v0, v[132:135]
	ds_write_b128 v0, v[136:139] offset:1056
	v_accvgpr_write_b32 a49, v0
	ds_write_b128 v0, v[96:99] offset:2112
	v_mad_legacy_u16 v0, v8, s0, v9
	v_lshlrev_b32_e32 v0, 4, v0
	v_accvgpr_write_b32 a43, v23
	ds_write_b128 v0, v[140:143]
	ds_write_b128 v0, v[144:147] offset:1056
	v_accvgpr_write_b32 a50, v0
	ds_write_b128 v0, v[92:95] offset:2112
	v_lshlrev_b32_e32 v0, 4, v10
	v_accvgpr_write_b32 a42, v22
	v_accvgpr_write_b32 a41, v21
	;; [unrolled: 1-line block ×7, first 2 shown]
	s_and_saveexec_b64 s[0:1], s[2:3]
	s_cbranch_execz .LBB0_15
; %bb.14:
	v_add_f64 v[0:1], v[90:91], v[112:113]
	v_add_f64 v[86:87], v[0:1], v[84:85]
	;; [unrolled: 1-line block ×4, first 2 shown]
	v_accvgpr_read_b32 v0, a47
	ds_write_b128 v0, v[84:87] offset:28512
	ds_write_b128 v0, v[124:127] offset:29568
	;; [unrolled: 1-line block ×3, first 2 shown]
.LBB0_15:
	s_or_b64 exec, exec, s[0:1]
	v_lshlrev_b32_e32 v110, 6, v186
	s_waitcnt lgkmcnt(0)
	s_barrier
	global_load_dwordx4 v[96:99], v110, s[6:7] offset:2992
	global_load_dwordx4 v[92:95], v110, s[6:7] offset:3008
	;; [unrolled: 1-line block ×4, first 2 shown]
	ds_read_b128 v[104:107], v187
	ds_read_b128 v[100:103], v187 offset:3168
	ds_read_b128 v[112:115], v187 offset:6336
	ds_read_b128 v[116:119], v187 offset:9504
	ds_read_b128 v[128:131], v187 offset:12672
	ds_read_b128 v[132:135], v187 offset:15840
	ds_read_b128 v[136:139], v187 offset:19008
	ds_read_b128 v[140:143], v187 offset:22176
	ds_read_b128 v[144:147], v187 offset:25344
	ds_read_b128 v[148:151], v187 offset:28512
	v_lshl_add_u64 v[108:109], s[6:7], 0, v[110:111]
	s_mov_b32 s16, 0x134454ff
	s_mov_b32 s17, 0x3fee6f0e
	s_mov_b32 s0, 0x4755a5e
	s_mov_b32 s21, 0xbfee6f0e
	s_mov_b32 s20, s16
	s_mov_b32 s1, 0x3fe2cf23
	s_mov_b32 s18, 0x372fe950
	s_mov_b32 s23, 0xbfe2cf23
	s_mov_b32 s22, s0
	s_mov_b32 s19, 0x3fd3c6ef
	s_waitcnt lgkmcnt(0)
	s_barrier
	s_waitcnt vmcnt(3)
	v_mul_f64 v[0:1], v[114:115], v[98:99]
	s_waitcnt vmcnt(2)
	v_mul_f64 v[52:53], v[130:131], v[94:95]
	;; [unrolled: 2-line block ×3, first 2 shown]
	v_mul_f64 v[2:3], v[112:113], v[98:99]
	v_mul_f64 v[54:55], v[128:129], v[94:95]
	s_waitcnt vmcnt(0)
	v_mul_f64 v[110:111], v[146:147], v[86:87]
	v_mul_f64 v[152:153], v[144:145], v[86:87]
	v_fma_f64 v[0:1], v[112:113], v[96:97], -v[0:1]
	v_fma_f64 v[52:53], v[128:129], v[92:93], -v[52:53]
	;; [unrolled: 1-line block ×3, first 2 shown]
	v_mul_f64 v[58:59], v[136:137], v[90:91]
	v_mul_f64 v[154:155], v[118:119], v[98:99]
	;; [unrolled: 1-line block ×3, first 2 shown]
	v_fmac_f64_e32 v[2:3], v[114:115], v[96:97]
	v_fmac_f64_e32 v[54:55], v[130:131], v[92:93]
	v_fma_f64 v[130:131], v[144:145], v[84:85], -v[110:111]
	v_fmac_f64_e32 v[152:153], v[146:147], v[84:85]
	v_add_f64 v[110:111], v[104:105], v[0:1]
	v_add_f64 v[112:113], v[52:53], v[56:57]
	v_mul_f64 v[156:157], v[116:117], v[98:99]
	v_mul_f64 v[160:161], v[132:133], v[94:95]
	;; [unrolled: 1-line block ×3, first 2 shown]
	v_fmac_f64_e32 v[58:59], v[138:139], v[88:89]
	v_fma_f64 v[146:147], v[116:117], v[96:97], -v[154:155]
	v_fma_f64 v[154:155], v[140:141], v[88:89], -v[162:163]
	v_add_f64 v[116:117], v[2:3], -v[152:153]
	v_add_f64 v[114:115], v[0:1], -v[52:53]
	;; [unrolled: 1-line block ×3, first 2 shown]
	v_add_f64 v[140:141], v[110:111], v[52:53]
	v_fma_f64 v[110:111], -0.5, v[112:113], v[104:105]
	v_mul_f64 v[158:159], v[134:135], v[94:95]
	v_fmac_f64_e32 v[160:161], v[134:135], v[92:93]
	v_add_f64 v[134:135], v[54:55], -v[58:59]
	v_add_f64 v[112:113], v[114:115], v[128:129]
	v_fma_f64 v[114:115], s[16:17], v[116:117], v[110:111]
	v_fmac_f64_e32 v[110:111], s[20:21], v[116:117]
	v_fmac_f64_e32 v[114:115], s[0:1], v[134:135]
	;; [unrolled: 1-line block ×5, first 2 shown]
	v_add_f64 v[112:113], v[106:107], v[2:3]
	v_fmac_f64_e32 v[156:157], v[118:119], v[96:97]
	v_fma_f64 v[118:119], v[132:133], v[92:93], -v[158:159]
	v_add_f64 v[132:133], v[0:1], v[130:131]
	v_add_f64 v[112:113], v[112:113], v[54:55]
	v_fmac_f64_e32 v[104:105], -0.5, v[132:133]
	v_add_f64 v[112:113], v[112:113], v[58:59]
	v_fma_f64 v[128:129], s[20:21], v[134:135], v[104:105]
	v_fmac_f64_e32 v[104:105], s[16:17], v[134:135]
	v_add_f64 v[134:135], v[112:113], v[152:153]
	v_add_f64 v[112:113], v[54:55], v[58:59]
	v_add_f64 v[136:137], v[52:53], -v[0:1]
	v_add_f64 v[132:133], v[140:141], v[56:57]
	v_fma_f64 v[112:113], -0.5, v[112:113], v[106:107]
	v_add_f64 v[0:1], v[0:1], -v[130:131]
	v_add_f64 v[138:139], v[56:57], -v[130:131]
	v_add_f64 v[132:133], v[132:133], v[130:131]
	v_fmac_f64_e32 v[128:129], s[0:1], v[116:117]
	v_fmac_f64_e32 v[104:105], s[22:23], v[116:117]
	v_fma_f64 v[116:117], s[20:21], v[0:1], v[112:113]
	v_add_f64 v[52:53], v[52:53], -v[56:57]
	v_add_f64 v[56:57], v[2:3], -v[54:55]
	;; [unrolled: 1-line block ×3, first 2 shown]
	v_fmac_f64_e32 v[112:113], s[16:17], v[0:1]
	v_fmac_f64_e32 v[116:117], s[22:23], v[52:53]
	v_add_f64 v[56:57], v[56:57], v[130:131]
	v_fmac_f64_e32 v[112:113], s[0:1], v[52:53]
	v_fmac_f64_e32 v[116:117], s[18:19], v[56:57]
	;; [unrolled: 1-line block ×3, first 2 shown]
	v_add_f64 v[56:57], v[2:3], v[152:153]
	v_fmac_f64_e32 v[106:107], -0.5, v[56:57]
	v_fma_f64 v[130:131], s[16:17], v[52:53], v[106:107]
	v_fmac_f64_e32 v[106:107], s[20:21], v[52:53]
	v_fmac_f64_e32 v[130:131], s[22:23], v[0:1]
	v_fmac_f64_e32 v[106:107], s[0:1], v[0:1]
	v_add_f64 v[0:1], v[100:101], v[146:147]
	v_mul_f64 v[166:167], v[150:151], v[86:87]
	v_add_f64 v[0:1], v[0:1], v[118:119]
	v_mul_f64 v[168:169], v[148:149], v[86:87]
	v_fma_f64 v[158:159], v[148:149], v[84:85], -v[166:167]
	v_add_f64 v[136:137], v[136:137], v[138:139]
	v_add_f64 v[0:1], v[0:1], v[154:155]
	v_fmac_f64_e32 v[168:169], v[150:151], v[84:85]
	v_fmac_f64_e32 v[128:129], s[18:19], v[136:137]
	;; [unrolled: 1-line block ×3, first 2 shown]
	v_add_f64 v[2:3], v[54:55], -v[2:3]
	v_add_f64 v[54:55], v[58:59], -v[152:153]
	v_add_f64 v[136:137], v[0:1], v[158:159]
	v_add_f64 v[0:1], v[118:119], v[154:155]
	v_fmac_f64_e32 v[164:165], v[142:143], v[88:89]
	v_add_f64 v[2:3], v[2:3], v[54:55]
	v_fma_f64 v[140:141], -0.5, v[0:1], v[100:101]
	v_add_f64 v[0:1], v[156:157], -v[168:169]
	v_fmac_f64_e32 v[130:131], s[18:19], v[2:3]
	v_fmac_f64_e32 v[106:107], s[18:19], v[2:3]
	v_fma_f64 v[144:145], s[16:17], v[0:1], v[140:141]
	v_add_f64 v[2:3], v[160:161], -v[164:165]
	v_add_f64 v[52:53], v[146:147], -v[118:119]
	;; [unrolled: 1-line block ×3, first 2 shown]
	v_fmac_f64_e32 v[140:141], s[20:21], v[0:1]
	v_fmac_f64_e32 v[144:145], s[0:1], v[2:3]
	v_add_f64 v[52:53], v[52:53], v[54:55]
	v_fmac_f64_e32 v[140:141], s[22:23], v[2:3]
	v_fmac_f64_e32 v[144:145], s[18:19], v[52:53]
	;; [unrolled: 1-line block ×3, first 2 shown]
	v_add_f64 v[52:53], v[146:147], v[158:159]
	v_fmac_f64_e32 v[100:101], -0.5, v[52:53]
	v_fma_f64 v[148:149], s[20:21], v[2:3], v[100:101]
	v_fmac_f64_e32 v[100:101], s[16:17], v[2:3]
	v_fmac_f64_e32 v[148:149], s[0:1], v[0:1]
	;; [unrolled: 1-line block ×3, first 2 shown]
	v_add_f64 v[0:1], v[102:103], v[156:157]
	v_add_f64 v[0:1], v[0:1], v[160:161]
	v_add_f64 v[0:1], v[0:1], v[164:165]
	v_add_f64 v[52:53], v[118:119], -v[146:147]
	v_add_f64 v[54:55], v[154:155], -v[158:159]
	v_add_f64 v[138:139], v[0:1], v[168:169]
	v_add_f64 v[0:1], v[160:161], v[164:165]
	;; [unrolled: 1-line block ×3, first 2 shown]
	v_fma_f64 v[142:143], -0.5, v[0:1], v[102:103]
	v_add_f64 v[0:1], v[146:147], -v[158:159]
	v_fmac_f64_e32 v[148:149], s[18:19], v[52:53]
	v_fmac_f64_e32 v[100:101], s[18:19], v[52:53]
	v_fma_f64 v[146:147], s[20:21], v[0:1], v[142:143]
	v_add_f64 v[2:3], v[118:119], -v[154:155]
	v_add_f64 v[52:53], v[156:157], -v[160:161]
	;; [unrolled: 1-line block ×3, first 2 shown]
	v_fmac_f64_e32 v[142:143], s[16:17], v[0:1]
	v_fmac_f64_e32 v[146:147], s[22:23], v[2:3]
	v_add_f64 v[52:53], v[52:53], v[54:55]
	v_fmac_f64_e32 v[142:143], s[0:1], v[2:3]
	v_fmac_f64_e32 v[146:147], s[18:19], v[52:53]
	;; [unrolled: 1-line block ×3, first 2 shown]
	v_add_f64 v[52:53], v[156:157], v[168:169]
	v_fmac_f64_e32 v[102:103], -0.5, v[52:53]
	v_fma_f64 v[150:151], s[16:17], v[2:3], v[102:103]
	v_fmac_f64_e32 v[102:103], s[20:21], v[2:3]
	v_fmac_f64_e32 v[150:151], s[22:23], v[0:1]
	;; [unrolled: 1-line block ×3, first 2 shown]
	v_mul_hi_i32_i24_e32 v1, 0xffffffd0, v186
	v_mul_i32_i24_e32 v0, 0xffffffd0, v186
	v_lshl_add_u64 v[0:1], v[108:109], 0, v[0:1]
	s_movk_i32 s0, 0x3000
	v_add_f64 v[52:53], v[160:161], -v[156:157]
	v_add_f64 v[54:55], v[164:165], -v[168:169]
	v_add_co_u32_e32 v2, vcc, s0, v0
	v_add_f64 v[52:53], v[52:53], v[54:55]
	s_nop 0
	v_addc_co_u32_e32 v3, vcc, 0, v1, vcc
	s_movk_i32 s0, 0x4000
	v_fmac_f64_e32 v[150:151], s[18:19], v[52:53]
	v_fmac_f64_e32 v[102:103], s[18:19], v[52:53]
	v_add_co_u32_e32 v52, vcc, s0, v0
	s_movk_i32 s0, 0x5000
	s_nop 0
	v_addc_co_u32_e32 v53, vcc, 0, v1, vcc
	ds_write_b128 v187, v[132:135]
	ds_write_b128 v187, v[114:117] offset:3168
	ds_write_b128 v187, v[128:131] offset:6336
	;; [unrolled: 1-line block ×9, first 2 shown]
	s_waitcnt lgkmcnt(0)
	s_barrier
	global_load_dwordx4 v[104:107], v[2:3], off offset:3376
	global_load_dwordx4 v[100:103], v[52:53], off offset:2448
	v_add_co_u32_e32 v2, vcc, s0, v0
	s_movk_i32 s0, 0x6000
	s_nop 0
	v_addc_co_u32_e32 v3, vcc, 0, v1, vcc
	v_add_co_u32_e32 v0, vcc, s0, v0
	global_load_dwordx4 v[108:111], v[2:3], off offset:1520
	s_nop 0
	v_addc_co_u32_e32 v1, vcc, 0, v1, vcc
	global_load_dwordx4 v[112:115], v[0:1], off offset:592
	global_load_dwordx4 v[116:119], v[0:1], off offset:3760
	ds_read_b128 v[128:131], v187 offset:15840
	ds_read_b128 v[136:139], v187
	ds_read_b128 v[144:147], v187 offset:3168
	ds_read_b128 v[132:135], v187 offset:19008
	;; [unrolled: 1-line block ×8, first 2 shown]
	s_waitcnt vmcnt(4) lgkmcnt(9)
	v_mul_f64 v[0:1], v[130:131], v[106:107]
	v_fma_f64 v[0:1], v[128:129], v[104:105], -v[0:1]
	v_mul_f64 v[2:3], v[128:129], v[106:107]
	s_waitcnt vmcnt(3) lgkmcnt(6)
	v_mul_f64 v[52:53], v[134:135], v[102:103]
	v_mul_f64 v[54:55], v[132:133], v[102:103]
	v_fmac_f64_e32 v[2:3], v[130:131], v[104:105]
	v_fma_f64 v[52:53], v[132:133], v[100:101], -v[52:53]
	v_fmac_f64_e32 v[54:55], v[134:135], v[100:101]
	v_add_f64 v[132:133], v[136:137], -v[0:1]
	s_waitcnt vmcnt(2) lgkmcnt(5)
	v_mul_f64 v[56:57], v[142:143], v[110:111]
	v_mul_f64 v[58:59], v[140:141], v[110:111]
	s_waitcnt vmcnt(1) lgkmcnt(1)
	v_mul_f64 v[128:129], v[150:151], v[114:115]
	v_fma_f64 v[164:165], v[148:149], v[112:113], -v[128:129]
	v_mul_f64 v[166:167], v[148:149], v[114:115]
	s_waitcnt vmcnt(0) lgkmcnt(0)
	v_mul_f64 v[128:129], v[158:159], v[118:119]
	v_mul_f64 v[174:175], v[156:157], v[118:119]
	v_fma_f64 v[56:57], v[140:141], v[108:109], -v[56:57]
	v_fmac_f64_e32 v[58:59], v[142:143], v[108:109]
	v_fmac_f64_e32 v[166:167], v[150:151], v[112:113]
	v_fma_f64 v[172:173], v[156:157], v[116:117], -v[128:129]
	v_fmac_f64_e32 v[174:175], v[158:159], v[116:117]
	v_add_f64 v[134:135], v[138:139], -v[2:3]
	v_add_f64 v[140:141], v[144:145], -v[52:53]
	v_add_f64 v[142:143], v[146:147], -v[54:55]
	v_add_f64 v[148:149], v[152:153], -v[56:57]
	v_add_f64 v[150:151], v[154:155], -v[58:59]
	v_add_f64 v[156:157], v[160:161], -v[164:165]
	v_add_f64 v[158:159], v[162:163], -v[166:167]
	v_add_f64 v[164:165], v[168:169], -v[172:173]
	v_add_f64 v[166:167], v[170:171], -v[174:175]
	v_fma_f64 v[128:129], v[136:137], 2.0, -v[132:133]
	v_fma_f64 v[130:131], v[138:139], 2.0, -v[134:135]
	;; [unrolled: 1-line block ×10, first 2 shown]
	ds_write_b128 v187, v[128:131]
	ds_write_b128 v187, v[132:135] offset:15840
	ds_write_b128 v187, v[136:139] offset:3168
	;; [unrolled: 1-line block ×9, first 2 shown]
	s_waitcnt lgkmcnt(0)
	s_barrier
	s_and_saveexec_b64 s[0:1], s[4:5]
	s_cbranch_execz .LBB0_17
; %bb.16:
	v_mov_b32_e32 v185, 0
	v_lshl_add_u64 v[168:169], s[14:15], 0, v[184:185]
	v_add_co_u32_e32 v2, vcc, 0x7000, v168
	ds_read_b128 v[170:173], v187
	s_nop 0
	v_addc_co_u32_e32 v3, vcc, 0, v169, vcc
	global_load_dwordx4 v[174:177], v[2:3], off offset:3008
	s_mov_b64 s[6:7], 0x7bc0
	v_lshl_add_u64 v[0:1], v[168:169], 0, s[6:7]
	s_mov_b32 s6, 0x9000
	s_waitcnt vmcnt(0) lgkmcnt(0)
	v_mul_f64 v[2:3], v[172:173], v[176:177]
	v_mul_f64 v[180:181], v[170:171], v[176:177]
	v_fma_f64 v[178:179], v[170:171], v[174:175], -v[2:3]
	v_fmac_f64_e32 v[180:181], v[172:173], v[174:175]
	global_load_dwordx4 v[174:177], v[0:1], off offset:2880
	ds_write_b128 v187, v[178:181]
	ds_read_b128 v[170:173], v184 offset:2880
	s_waitcnt vmcnt(0) lgkmcnt(0)
	v_mul_f64 v[0:1], v[172:173], v[176:177]
	v_fma_f64 v[178:179], v[170:171], v[174:175], -v[0:1]
	v_add_co_u32_e32 v0, vcc, s6, v168
	v_mul_f64 v[180:181], v[170:171], v[176:177]
	s_nop 0
	v_addc_co_u32_e32 v1, vcc, 0, v169, vcc
	v_fmac_f64_e32 v[180:181], v[172:173], v[174:175]
	global_load_dwordx4 v[174:177], v[0:1], off offset:576
	ds_read_b128 v[170:173], v184 offset:5760
	ds_write_b128 v184, v[178:181] offset:2880
	s_mov_b32 s6, 0xa000
	s_waitcnt vmcnt(0) lgkmcnt(1)
	v_mul_f64 v[2:3], v[172:173], v[176:177]
	v_mul_f64 v[180:181], v[170:171], v[176:177]
	v_fma_f64 v[178:179], v[170:171], v[174:175], -v[2:3]
	v_fmac_f64_e32 v[180:181], v[172:173], v[174:175]
	global_load_dwordx4 v[174:177], v[0:1], off offset:3456
	ds_read_b128 v[170:173], v184 offset:8640
	ds_write_b128 v184, v[178:181] offset:5760
	s_waitcnt vmcnt(0) lgkmcnt(1)
	v_mul_f64 v[0:1], v[172:173], v[176:177]
	v_fma_f64 v[178:179], v[170:171], v[174:175], -v[0:1]
	v_add_co_u32_e32 v0, vcc, s6, v168
	v_mul_f64 v[180:181], v[170:171], v[176:177]
	s_nop 0
	v_addc_co_u32_e32 v1, vcc, 0, v169, vcc
	v_fmac_f64_e32 v[180:181], v[172:173], v[174:175]
	global_load_dwordx4 v[174:177], v[0:1], off offset:2240
	ds_read_b128 v[170:173], v184 offset:11520
	s_mov_b32 s6, 0xb000
	ds_write_b128 v184, v[178:181] offset:8640
	s_waitcnt vmcnt(0) lgkmcnt(1)
	v_mul_f64 v[0:1], v[172:173], v[176:177]
	v_fma_f64 v[178:179], v[170:171], v[174:175], -v[0:1]
	v_add_co_u32_e32 v0, vcc, s6, v168
	v_mul_f64 v[180:181], v[170:171], v[176:177]
	s_nop 0
	v_addc_co_u32_e32 v1, vcc, 0, v169, vcc
	v_fmac_f64_e32 v[180:181], v[172:173], v[174:175]
	global_load_dwordx4 v[174:177], v[0:1], off offset:1024
	ds_read_b128 v[170:173], v184 offset:14400
	ds_write_b128 v184, v[178:181] offset:11520
	s_mov_b32 s6, 0xc000
	s_waitcnt vmcnt(0) lgkmcnt(1)
	v_mul_f64 v[2:3], v[172:173], v[176:177]
	v_mul_f64 v[180:181], v[170:171], v[176:177]
	v_fma_f64 v[178:179], v[170:171], v[174:175], -v[2:3]
	v_fmac_f64_e32 v[180:181], v[172:173], v[174:175]
	global_load_dwordx4 v[174:177], v[0:1], off offset:3904
	ds_read_b128 v[170:173], v184 offset:17280
	ds_write_b128 v184, v[178:181] offset:14400
	s_waitcnt vmcnt(0) lgkmcnt(1)
	v_mul_f64 v[0:1], v[172:173], v[176:177]
	v_fma_f64 v[178:179], v[170:171], v[174:175], -v[0:1]
	v_add_co_u32_e32 v0, vcc, s6, v168
	v_mul_f64 v[180:181], v[170:171], v[176:177]
	s_nop 0
	v_addc_co_u32_e32 v1, vcc, 0, v169, vcc
	v_fmac_f64_e32 v[180:181], v[172:173], v[174:175]
	global_load_dwordx4 v[174:177], v[0:1], off offset:2688
	ds_read_b128 v[170:173], v184 offset:20160
	s_mov_b32 s6, 0xd000
	ds_write_b128 v184, v[178:181] offset:17280
	s_waitcnt vmcnt(0) lgkmcnt(1)
	v_mul_f64 v[0:1], v[172:173], v[176:177]
	v_fma_f64 v[178:179], v[170:171], v[174:175], -v[0:1]
	v_add_co_u32_e32 v0, vcc, s6, v168
	v_mul_f64 v[180:181], v[170:171], v[176:177]
	s_nop 0
	v_addc_co_u32_e32 v1, vcc, 0, v169, vcc
	v_fmac_f64_e32 v[180:181], v[172:173], v[174:175]
	global_load_dwordx4 v[174:177], v[0:1], off offset:1472
	ds_read_b128 v[170:173], v184 offset:23040
	s_mov_b32 s6, 0xe000
	ds_write_b128 v184, v[178:181] offset:20160
	s_waitcnt vmcnt(0) lgkmcnt(1)
	v_mul_f64 v[0:1], v[172:173], v[176:177]
	v_fma_f64 v[178:179], v[170:171], v[174:175], -v[0:1]
	v_add_co_u32_e32 v0, vcc, s6, v168
	v_mul_f64 v[180:181], v[170:171], v[176:177]
	s_nop 0
	v_addc_co_u32_e32 v1, vcc, 0, v169, vcc
	v_fmac_f64_e32 v[180:181], v[172:173], v[174:175]
	global_load_dwordx4 v[174:177], v[0:1], off offset:256
	ds_read_b128 v[170:173], v184 offset:25920
	ds_write_b128 v184, v[178:181] offset:23040
	s_waitcnt vmcnt(0) lgkmcnt(1)
	v_mul_f64 v[2:3], v[172:173], v[176:177]
	v_fma_f64 v[168:169], v[170:171], v[174:175], -v[2:3]
	v_mul_f64 v[170:171], v[170:171], v[176:177]
	v_fmac_f64_e32 v[170:171], v[172:173], v[174:175]
	global_load_dwordx4 v[172:175], v[0:1], off offset:3136
	ds_write_b128 v184, v[168:171] offset:25920
	ds_read_b128 v[168:171], v184 offset:28800
	s_waitcnt vmcnt(0) lgkmcnt(0)
	v_mul_f64 v[0:1], v[170:171], v[174:175]
	v_mul_f64 v[178:179], v[168:169], v[174:175]
	v_fma_f64 v[176:177], v[168:169], v[172:173], -v[0:1]
	v_fmac_f64_e32 v[178:179], v[170:171], v[172:173]
	ds_write_b128 v184, v[176:179] offset:28800
.LBB0_17:
	s_or_b64 exec, exec, s[0:1]
	s_waitcnt lgkmcnt(0)
	s_barrier
	s_and_saveexec_b64 s[0:1], s[4:5]
	s_cbranch_execz .LBB0_19
; %bb.18:
	ds_read_b128 v[128:131], v187
	ds_read_b128 v[132:135], v187 offset:2880
	ds_read_b128 v[136:139], v187 offset:5760
	;; [unrolled: 1-line block ×10, first 2 shown]
.LBB0_19:
	s_or_b64 exec, exec, s[0:1]
	s_mov_b32 s28, 0xf8bb580b
	s_waitcnt lgkmcnt(0)
	v_add_f64 v[206:207], v[134:135], -v[126:127]
	s_mov_b32 s6, 0x8764f0ba
	s_mov_b32 s29, 0xbfe14ced
	;; [unrolled: 1-line block ×3, first 2 shown]
	v_add_f64 v[192:193], v[132:133], v[124:125]
	v_add_f64 v[198:199], v[134:135], v[126:127]
	s_mov_b32 s7, 0x3feaeb8c
	v_mul_f64 v[190:191], v[206:207], s[28:29]
	v_add_f64 v[218:219], v[138:139], -v[166:167]
	s_mov_b32 s16, 0xd9c712b6
	s_mov_b32 s21, 0xbfed1bb4
	v_add_f64 v[214:215], v[132:133], -v[124:125]
	v_mul_f64 v[194:195], v[198:199], s[6:7]
	v_fma_f64 v[0:1], v[192:193], s[6:7], -v[190:191]
	v_add_f64 v[200:201], v[136:137], v[164:165]
	v_add_f64 v[208:209], v[138:139], v[166:167]
	s_mov_b32 s17, 0x3fda9628
	v_mul_f64 v[196:197], v[218:219], s[20:21]
	s_mov_b32 s34, 0x43842ef
	v_add_f64 v[0:1], v[128:129], v[0:1]
	v_fma_f64 v[2:3], s[28:29], v[214:215], v[194:195]
	v_add_f64 v[226:227], v[136:137], -v[164:165]
	v_mul_f64 v[202:203], v[208:209], s[16:17]
	v_fma_f64 v[52:53], v[200:201], s[16:17], -v[196:197]
	v_add_f64 v[230:231], v[142:143], -v[162:163]
	s_mov_b32 s18, 0x640f44db
	s_mov_b32 s35, 0xbfefac9e
	v_add_f64 v[2:3], v[130:131], v[2:3]
	v_add_f64 v[0:1], v[52:53], v[0:1]
	v_fma_f64 v[52:53], s[20:21], v[226:227], v[202:203]
	v_add_f64 v[210:211], v[140:141], v[160:161]
	v_add_f64 v[220:221], v[142:143], v[162:163]
	s_mov_b32 s19, 0xbfc2375f
	v_mul_f64 v[204:205], v[230:231], s[34:35]
	v_add_f64 v[2:3], v[52:53], v[2:3]
	v_add_f64 v[244:245], v[140:141], -v[160:161]
	v_mul_f64 v[212:213], v[220:221], s[18:19]
	v_fma_f64 v[52:53], v[210:211], s[18:19], -v[204:205]
	v_add_f64 v[252:253], v[146:147], -v[158:159]
	s_mov_b32 s22, 0x7f775887
	v_add_f64 v[0:1], v[52:53], v[0:1]
	v_fma_f64 v[52:53], s[34:35], v[244:245], v[212:213]
	v_add_f64 v[222:223], v[144:145], v[156:157]
	v_add_f64 v[232:233], v[146:147], v[158:159]
	s_mov_b32 s23, 0xbfe4f49e
	v_mul_f64 v[216:217], v[252:253], s[26:27]
	v_add_f64 v[2:3], v[52:53], v[2:3]
	v_add_f64 v[246:247], v[144:145], -v[156:157]
	v_mul_f64 v[224:225], v[232:233], s[22:23]
	v_fma_f64 v[52:53], v[222:223], s[22:23], -v[216:217]
	v_add_f64 v[248:249], v[150:151], -v[154:155]
	s_mov_b32 s31, 0xbfd207e7
	s_mov_b32 s30, 0xfd768dbf
	v_add_f64 v[0:1], v[52:53], v[0:1]
	v_fma_f64 v[52:53], s[26:27], v[246:247], v[224:225]
	v_add_f64 v[240:241], v[148:149], v[152:153]
	v_add_f64 v[188:189], v[150:151], v[154:155]
	v_mul_f64 v[228:229], v[248:249], s[30:31]
	v_add_f64 v[2:3], v[52:53], v[2:3]
	v_add_f64 v[250:251], v[148:149], -v[152:153]
	v_mul_f64 v[236:237], v[188:189], s[24:25]
	v_fma_f64 v[52:53], v[240:241], s[24:25], -v[228:229]
	v_add_f64 v[168:169], v[52:53], v[0:1]
	v_fma_f64 v[0:1], s[30:31], v[250:251], v[236:237]
	v_add_f64 v[170:171], v[0:1], v[2:3]
	s_barrier
	s_and_saveexec_b64 s[0:1], s[4:5]
	s_cbranch_execz .LBB0_21
; %bb.20:
	v_mul_f64 v[0:1], v[192:193], s[6:7]
	v_accvgpr_write_b32 a53, v1
	v_accvgpr_write_b32 a52, v0
	v_mul_f64 v[0:1], v[214:215], s[28:29]
	v_accvgpr_write_b32 a63, v1
	v_accvgpr_write_b32 a62, v0
	;; [unrolled: 3-line block ×4, first 2 shown]
	v_mul_f64 v[0:1], v[222:223], s[22:23]
	s_mov_b32 s37, 0x3fe14ced
	s_mov_b32 s36, s28
	v_mul_f64 v[178:179], v[214:215], s[30:31]
	v_accvgpr_write_b32 a59, v1
	v_mul_f64 v[176:177], v[226:227], s[36:37]
	v_fma_f64 v[174:175], s[24:25], v[198:199], v[178:179]
	v_accvgpr_write_b32 a58, v0
	v_mul_f64 v[0:1], v[240:241], s[24:25]
	s_mov_b32 s39, 0x3fed1bb4
	s_mov_b32 s38, s20
	v_mul_f64 v[56:57], v[244:245], s[26:27]
	v_fma_f64 v[172:173], s[6:7], v[208:209], v[176:177]
	v_add_f64 v[174:175], v[130:131], v[174:175]
	v_mul_f64 v[8:9], v[206:207], s[30:31]
	v_accvgpr_write_b32 a61, v1
	v_mul_f64 v[52:53], v[246:247], s[38:39]
	v_fma_f64 v[58:59], s[22:23], v[220:221], v[56:57]
	v_add_f64 v[172:173], v[172:173], v[174:175]
	v_mul_f64 v[4:5], v[218:219], s[36:37]
	v_fma_f64 v[10:11], v[192:193], s[24:25], -v[8:9]
	v_accvgpr_write_b32 a60, v0
	v_mul_f64 v[0:1], v[250:251], s[34:35]
	v_fma_f64 v[54:55], s[16:17], v[232:233], v[52:53]
	v_add_f64 v[58:59], v[58:59], v[172:173]
	v_mul_f64 v[180:181], v[230:231], s[26:27]
	v_fma_f64 v[6:7], v[200:201], s[6:7], -v[4:5]
	v_add_f64 v[10:11], v[128:129], v[10:11]
	v_fma_f64 v[2:3], s[18:19], v[188:189], v[0:1]
	v_add_f64 v[54:55], v[54:55], v[58:59]
	v_mul_f64 v[58:59], v[252:253], s[38:39]
	v_accvgpr_write_b32 a0, v182
	v_mov_b32_e32 v185, v183
	v_fma_f64 v[182:183], v[210:211], s[22:23], -v[180:181]
	v_add_f64 v[6:7], v[6:7], v[10:11]
	v_add_f64 v[174:175], v[2:3], v[54:55]
	v_mul_f64 v[2:3], v[248:249], s[34:35]
	v_fma_f64 v[172:173], v[222:223], s[16:17], -v[58:59]
	v_add_f64 v[6:7], v[182:183], v[6:7]
	v_fma_f64 v[54:55], v[240:241], s[18:19], -v[2:3]
	v_add_f64 v[6:7], v[172:173], v[6:7]
	v_add_f64 v[172:173], v[54:55], v[6:7]
	v_fma_f64 v[54:55], v[198:199], s[24:25], -v[178:179]
	v_fma_f64 v[6:7], v[232:233], s[16:17], -v[52:53]
	;; [unrolled: 1-line block ×3, first 2 shown]
	v_add_f64 v[54:55], v[130:131], v[54:55]
	v_fma_f64 v[10:11], v[220:221], s[22:23], -v[56:57]
	v_add_f64 v[52:53], v[52:53], v[54:55]
	v_add_f64 v[10:11], v[10:11], v[52:53]
	v_fma_f64 v[0:1], v[188:189], s[18:19], -v[0:1]
	v_add_f64 v[6:7], v[6:7], v[10:11]
	v_fmac_f64_e32 v[8:9], s[24:25], v[192:193]
	v_add_f64 v[178:179], v[0:1], v[6:7]
	v_fmac_f64_e32 v[4:5], s[6:7], v[200:201]
	;; [unrolled: 2-line block ×4, first 2 shown]
	v_add_f64 v[0:1], v[180:181], v[0:1]
	s_mov_b32 s41, 0x3fefac9e
	s_mov_b32 s40, s34
	v_mul_f64 v[56:57], v[214:215], s[26:27]
	v_add_f64 v[0:1], v[58:59], v[0:1]
	v_mul_f64 v[52:53], v[226:227], s[40:41]
	v_fma_f64 v[58:59], s[22:23], v[198:199], v[56:57]
	v_accvgpr_write_b32 a4, v16
	v_mul_f64 v[8:9], v[244:245], s[28:29]
	v_fma_f64 v[54:55], s[18:19], v[208:209], v[52:53]
	v_add_f64 v[58:59], v[130:131], v[58:59]
	v_accvgpr_write_b32 a5, v17
	v_accvgpr_write_b32 a6, v18
	;; [unrolled: 1-line block ×3, first 2 shown]
	v_mul_f64 v[16:17], v[206:207], s[26:27]
	v_fmac_f64_e32 v[2:3], s[18:19], v[240:241]
	v_mul_f64 v[4:5], v[246:247], s[30:31]
	v_fma_f64 v[10:11], s[6:7], v[220:221], v[8:9]
	v_add_f64 v[54:55], v[54:55], v[58:59]
	v_mul_f64 v[12:13], v[218:219], s[40:41]
	v_fma_f64 v[18:19], v[192:193], s[22:23], -v[16:17]
	v_add_f64 v[176:177], v[2:3], v[0:1]
	v_mul_f64 v[0:1], v[250:251], s[38:39]
	v_fma_f64 v[6:7], s[24:25], v[232:233], v[4:5]
	v_add_f64 v[10:11], v[10:11], v[54:55]
	v_mul_f64 v[58:59], v[230:231], s[28:29]
	v_fma_f64 v[14:15], v[200:201], s[18:19], -v[12:13]
	v_add_f64 v[18:19], v[128:129], v[18:19]
	v_fma_f64 v[2:3], s[16:17], v[188:189], v[0:1]
	v_add_f64 v[6:7], v[6:7], v[10:11]
	v_mul_f64 v[10:11], v[252:253], s[30:31]
	v_fma_f64 v[180:181], v[210:211], s[6:7], -v[58:59]
	v_add_f64 v[14:15], v[14:15], v[18:19]
	v_add_f64 v[182:183], v[2:3], v[6:7]
	v_mul_f64 v[2:3], v[248:249], s[38:39]
	v_fma_f64 v[54:55], v[222:223], s[24:25], -v[10:11]
	v_add_f64 v[14:15], v[180:181], v[14:15]
	v_fma_f64 v[6:7], v[240:241], s[16:17], -v[2:3]
	v_add_f64 v[14:15], v[54:55], v[14:15]
	v_add_f64 v[180:181], v[6:7], v[14:15]
	v_fma_f64 v[14:15], v[198:199], s[22:23], -v[56:57]
	v_fma_f64 v[6:7], v[220:221], s[6:7], -v[8:9]
	;; [unrolled: 1-line block ×3, first 2 shown]
	v_add_f64 v[14:15], v[130:131], v[14:15]
	v_add_f64 v[8:9], v[8:9], v[14:15]
	v_fma_f64 v[4:5], v[232:233], s[24:25], -v[4:5]
	v_add_f64 v[6:7], v[6:7], v[8:9]
	v_fma_f64 v[0:1], v[188:189], s[16:17], -v[0:1]
	v_add_f64 v[4:5], v[4:5], v[6:7]
	v_fmac_f64_e32 v[16:17], s[22:23], v[192:193]
	v_accvgpr_write_b32 a1, v234
	v_accvgpr_write_b32 a2, v235
	v_mul_f64 v[234:235], v[250:251], s[30:31]
	v_add_f64 v[54:55], v[0:1], v[4:5]
	v_fmac_f64_e32 v[12:13], s[18:19], v[200:201]
	v_add_f64 v[0:1], v[128:129], v[16:17]
	s_mov_b32 s31, 0x3fd207e7
	v_mul_f64 v[16:17], v[214:215], s[34:35]
	v_fmac_f64_e32 v[58:59], s[6:7], v[210:211]
	v_add_f64 v[0:1], v[12:13], v[0:1]
	v_mul_f64 v[12:13], v[226:227], s[30:31]
	v_fma_f64 v[18:19], s[18:19], v[198:199], v[16:17]
	v_fmac_f64_e32 v[10:11], s[24:25], v[222:223]
	v_add_f64 v[0:1], v[58:59], v[0:1]
	v_mul_f64 v[8:9], v[244:245], s[38:39]
	v_fma_f64 v[14:15], s[24:25], v[208:209], v[12:13]
	v_add_f64 v[18:19], v[130:131], v[18:19]
	v_mul_f64 v[24:25], v[206:207], s[34:35]
	v_fmac_f64_e32 v[2:3], s[16:17], v[240:241]
	v_add_f64 v[0:1], v[10:11], v[0:1]
	v_mul_f64 v[4:5], v[246:247], s[28:29]
	v_fma_f64 v[10:11], s[16:17], v[220:221], v[8:9]
	v_add_f64 v[14:15], v[14:15], v[18:19]
	v_mul_f64 v[20:21], v[218:219], s[30:31]
	v_fma_f64 v[26:27], v[192:193], s[18:19], -v[24:25]
	v_add_f64 v[52:53], v[2:3], v[0:1]
	v_mul_f64 v[0:1], v[250:251], s[26:27]
	v_fma_f64 v[6:7], s[6:7], v[232:233], v[4:5]
	v_add_f64 v[10:11], v[10:11], v[14:15]
	v_mul_f64 v[18:19], v[230:231], s[38:39]
	v_fma_f64 v[22:23], v[200:201], s[24:25], -v[20:21]
	v_add_f64 v[26:27], v[128:129], v[26:27]
	v_fma_f64 v[2:3], s[22:23], v[188:189], v[0:1]
	v_add_f64 v[6:7], v[6:7], v[10:11]
	v_mul_f64 v[10:11], v[252:253], s[28:29]
	v_fma_f64 v[56:57], v[210:211], s[16:17], -v[18:19]
	v_add_f64 v[22:23], v[22:23], v[26:27]
	v_add_f64 v[58:59], v[2:3], v[6:7]
	v_mul_f64 v[6:7], v[248:249], s[26:27]
	v_fma_f64 v[14:15], v[222:223], s[6:7], -v[10:11]
	v_add_f64 v[22:23], v[56:57], v[22:23]
	v_fma_f64 v[2:3], v[240:241], s[22:23], -v[6:7]
	v_add_f64 v[14:15], v[14:15], v[22:23]
	v_add_f64 v[56:57], v[2:3], v[14:15]
	v_fma_f64 v[2:3], v[232:233], s[6:7], -v[4:5]
	v_fma_f64 v[4:5], v[220:221], s[16:17], -v[8:9]
	;; [unrolled: 1-line block ×4, first 2 shown]
	v_add_f64 v[12:13], v[130:131], v[12:13]
	v_add_f64 v[8:9], v[8:9], v[12:13]
	;; [unrolled: 1-line block ×3, first 2 shown]
	v_fma_f64 v[0:1], v[188:189], s[22:23], -v[0:1]
	v_add_f64 v[2:3], v[2:3], v[4:5]
	v_fmac_f64_e32 v[24:25], s[18:19], v[192:193]
	v_add_f64 v[2:3], v[0:1], v[2:3]
	v_fmac_f64_e32 v[20:21], s[24:25], v[200:201]
	v_add_f64 v[0:1], v[128:129], v[24:25]
	v_add_f64 v[0:1], v[20:21], v[0:1]
	v_mul_f64 v[20:21], v[214:215], s[20:21]
	v_fmac_f64_e32 v[18:19], s[16:17], v[210:211]
	v_mul_f64 v[16:17], v[226:227], s[26:27]
	v_fma_f64 v[22:23], s[16:17], v[198:199], v[20:21]
	v_add_f64 v[0:1], v[18:19], v[0:1]
	v_mul_f64 v[12:13], v[244:245], s[30:31]
	v_fma_f64 v[18:19], s[22:23], v[208:209], v[16:17]
	v_add_f64 v[22:23], v[130:131], v[22:23]
	v_mul_f64 v[206:207], v[206:207], s[20:21]
	v_fmac_f64_e32 v[10:11], s[6:7], v[222:223]
	v_mul_f64 v[8:9], v[246:247], s[40:41]
	v_fma_f64 v[14:15], s[24:25], v[220:221], v[12:13]
	v_add_f64 v[18:19], v[18:19], v[22:23]
	v_mul_f64 v[26:27], v[218:219], s[26:27]
	v_fma_f64 v[218:219], v[192:193], s[16:17], -v[206:207]
	v_fmac_f64_e32 v[6:7], s[22:23], v[240:241]
	v_add_f64 v[0:1], v[10:11], v[0:1]
	v_mul_f64 v[4:5], v[250:251], s[36:37]
	v_fma_f64 v[10:11], s[18:19], v[232:233], v[8:9]
	v_add_f64 v[14:15], v[14:15], v[18:19]
	v_mul_f64 v[22:23], v[230:231], s[30:31]
	v_fma_f64 v[214:215], v[200:201], s[22:23], -v[26:27]
	v_add_f64 v[218:219], v[128:129], v[218:219]
	v_add_f64 v[0:1], v[6:7], v[0:1]
	v_fma_f64 v[6:7], s[6:7], v[188:189], v[4:5]
	v_add_f64 v[10:11], v[10:11], v[14:15]
	v_mul_f64 v[14:15], v[252:253], s[40:41]
	v_fma_f64 v[24:25], v[210:211], s[24:25], -v[22:23]
	v_add_f64 v[214:215], v[214:215], v[218:219]
	v_accvgpr_write_b32 a3, v238
	v_accvgpr_write_b32 a24, v239
	v_mul_f64 v[238:239], v[246:247], s[26:27]
	v_add_f64 v[246:247], v[6:7], v[10:11]
	v_mul_f64 v[6:7], v[248:249], s[36:37]
	v_fma_f64 v[18:19], v[222:223], s[18:19], -v[14:15]
	v_add_f64 v[24:25], v[24:25], v[214:215]
	v_fma_f64 v[10:11], v[240:241], s[6:7], -v[6:7]
	v_add_f64 v[18:19], v[18:19], v[24:25]
	v_accvgpr_write_b32 a25, v242
	v_accvgpr_write_b32 a26, v243
	v_mul_f64 v[242:243], v[244:245], s[34:35]
	v_add_f64 v[244:245], v[10:11], v[18:19]
	v_fma_f64 v[10:11], v[220:221], s[24:25], -v[12:13]
	v_fma_f64 v[12:13], v[208:209], s[22:23], -v[16:17]
	;; [unrolled: 1-line block ×3, first 2 shown]
	v_add_f64 v[16:17], v[130:131], v[16:17]
	v_add_f64 v[12:13], v[12:13], v[16:17]
	v_fma_f64 v[8:9], v[232:233], s[18:19], -v[8:9]
	v_add_f64 v[10:11], v[10:11], v[12:13]
	v_fma_f64 v[4:5], v[188:189], s[6:7], -v[4:5]
	v_add_f64 v[8:9], v[8:9], v[10:11]
	v_fmac_f64_e32 v[206:207], s[16:17], v[192:193]
	v_accvgpr_read_b32 v12, a62
	v_add_f64 v[208:209], v[4:5], v[8:9]
	v_fmac_f64_e32 v[26:27], s[22:23], v[200:201]
	v_add_f64 v[4:5], v[128:129], v[206:207]
	v_accvgpr_read_b32 v13, a63
	v_accvgpr_write_b32 a27, v254
	v_accvgpr_write_b32 a44, v255
	v_mul_f64 v[254:255], v[226:227], s[20:21]
	v_fmac_f64_e32 v[22:23], s[24:25], v[210:211]
	v_add_f64 v[4:5], v[26:27], v[4:5]
	v_add_f64 v[12:13], v[194:195], -v[12:13]
	v_fmac_f64_e32 v[14:15], s[18:19], v[222:223]
	v_add_f64 v[4:5], v[22:23], v[4:5]
	v_add_f64 v[10:11], v[202:203], -v[254:255]
	v_add_f64 v[12:13], v[130:131], v[12:13]
	v_fmac_f64_e32 v[6:7], s[6:7], v[240:241]
	v_add_f64 v[4:5], v[14:15], v[4:5]
	v_add_f64 v[8:9], v[212:213], -v[242:243]
	v_add_f64 v[10:11], v[10:11], v[12:13]
	v_accvgpr_read_b32 v12, a52
	v_add_f64 v[206:207], v[6:7], v[4:5]
	v_add_f64 v[6:7], v[224:225], -v[238:239]
	v_add_f64 v[8:9], v[8:9], v[10:11]
	v_accvgpr_read_b32 v10, a54
	v_accvgpr_read_b32 v13, a53
	v_add_f64 v[4:5], v[236:237], -v[234:235]
	v_add_f64 v[6:7], v[6:7], v[8:9]
	v_accvgpr_read_b32 v8, a56
	v_accvgpr_read_b32 v11, a55
	v_add_f64 v[12:13], v[12:13], v[190:191]
	v_add_f64 v[192:193], v[4:5], v[6:7]
	v_accvgpr_read_b32 v6, a58
	v_accvgpr_read_b32 v9, a57
	v_add_f64 v[10:11], v[10:11], v[196:197]
	;; [unrolled: 4-line block ×3, first 2 shown]
	v_add_f64 v[10:11], v[10:11], v[12:13]
	v_accvgpr_read_b32 v5, a61
	v_add_f64 v[6:7], v[6:7], v[216:217]
	v_add_f64 v[8:9], v[8:9], v[10:11]
	v_add_f64 v[4:5], v[4:5], v[228:229]
	v_add_f64 v[6:7], v[6:7], v[8:9]
	v_add_f64 v[190:191], v[4:5], v[6:7]
	v_add_f64 v[4:5], v[130:131], v[134:135]
	v_add_f64 v[4:5], v[4:5], v[138:139]
	v_add_f64 v[4:5], v[4:5], v[142:143]
	v_add_f64 v[4:5], v[4:5], v[146:147]
	v_add_f64 v[4:5], v[4:5], v[150:151]
	v_add_f64 v[4:5], v[4:5], v[154:155]
	v_add_f64 v[4:5], v[4:5], v[158:159]
	v_add_f64 v[4:5], v[4:5], v[162:163]
	v_add_f64 v[4:5], v[4:5], v[166:167]
	v_add_f64 v[126:127], v[4:5], v[126:127]
	v_add_f64 v[4:5], v[128:129], v[132:133]
	v_add_f64 v[4:5], v[4:5], v[136:137]
	v_add_f64 v[4:5], v[4:5], v[140:141]
	v_add_f64 v[4:5], v[4:5], v[144:145]
	v_add_f64 v[4:5], v[4:5], v[148:149]
	v_add_f64 v[4:5], v[4:5], v[152:153]
	v_add_f64 v[4:5], v[4:5], v[156:157]
	v_add_f64 v[4:5], v[4:5], v[160:161]
	v_add_f64 v[4:5], v[4:5], v[164:165]
	v_accvgpr_read_b32 v19, a7
	v_add_f64 v[124:125], v[4:5], v[124:125]
	v_lshlrev_b32_e32 v4, 4, v185
	v_accvgpr_read_b32 v18, a6
	v_accvgpr_read_b32 v17, a5
	;; [unrolled: 1-line block ×11, first 2 shown]
	ds_write_b128 v4, v[124:127]
	ds_write_b128 v4, v[190:193] offset:16
	ds_write_b128 v4, v[206:209] offset:32
	;; [unrolled: 1-line block ×7, first 2 shown]
	v_accvgpr_read_b32 v182, a0
	ds_write_b128 v4, v[56:59] offset:128
	ds_write_b128 v4, v[244:247] offset:144
	;; [unrolled: 1-line block ×3, first 2 shown]
.LBB0_21:
	s_or_b64 exec, exec, s[0:1]
	v_accvgpr_read_b32 v6, a20
	v_accvgpr_read_b32 v8, a22
	;; [unrolled: 1-line block ×3, first 2 shown]
	s_waitcnt lgkmcnt(0)
	s_barrier
	ds_read_b128 v[0:3], v187 offset:15840
	ds_read_b128 v[52:55], v187
	ds_read_b128 v[56:59], v187 offset:3168
	ds_read_b128 v[124:127], v187 offset:19008
	;; [unrolled: 1-line block ×8, first 2 shown]
	v_accvgpr_read_b32 v7, a21
	s_waitcnt lgkmcnt(9)
	v_mul_f64 v[4:5], v[8:9], v[2:3]
	v_fmac_f64_e32 v[4:5], v[6:7], v[0:1]
	v_mul_f64 v[0:1], v[8:9], v[0:1]
	v_accvgpr_read_b32 v8, a16
	v_accvgpr_read_b32 v10, a18
	;; [unrolled: 1-line block ×3, first 2 shown]
	v_fma_f64 v[0:1], v[6:7], v[2:3], -v[0:1]
	v_accvgpr_read_b32 v9, a17
	s_waitcnt lgkmcnt(6)
	v_mul_f64 v[2:3], v[10:11], v[126:127]
	v_mul_f64 v[6:7], v[10:11], v[124:125]
	v_fmac_f64_e32 v[2:3], v[8:9], v[124:125]
	v_fma_f64 v[14:15], v[8:9], v[126:127], -v[6:7]
	v_accvgpr_read_b32 v8, a8
	v_accvgpr_read_b32 v10, a10
	;; [unrolled: 1-line block ×4, first 2 shown]
	s_waitcnt lgkmcnt(5)
	v_mul_f64 v[20:21], v[10:11], v[130:131]
	v_mul_f64 v[6:7], v[10:11], v[128:129]
	v_fmac_f64_e32 v[20:21], v[8:9], v[128:129]
	v_fma_f64 v[22:23], v[8:9], v[130:131], -v[6:7]
	v_accvgpr_read_b32 v8, a12
	s_waitcnt lgkmcnt(1)
	v_mul_f64 v[24:25], v[18:19], v[146:147]
	v_mul_f64 v[6:7], v[18:19], v[144:145]
	v_accvgpr_read_b32 v10, a14
	v_accvgpr_read_b32 v11, a15
	v_fmac_f64_e32 v[24:25], v[16:17], v[144:145]
	v_fma_f64 v[26:27], v[16:17], v[146:147], -v[6:7]
	v_accvgpr_read_b32 v9, a13
	s_waitcnt lgkmcnt(0)
	v_mul_f64 v[144:145], v[10:11], v[150:151]
	v_mul_f64 v[6:7], v[10:11], v[148:149]
	v_fmac_f64_e32 v[144:145], v[8:9], v[148:149]
	v_fma_f64 v[146:147], v[8:9], v[150:151], -v[6:7]
	v_add_f64 v[4:5], v[52:53], -v[4:5]
	v_add_f64 v[6:7], v[54:55], -v[0:1]
	v_fma_f64 v[8:9], v[52:53], 2.0, -v[4:5]
	v_fma_f64 v[10:11], v[54:55], 2.0, -v[6:7]
	v_add_f64 v[12:13], v[56:57], -v[2:3]
	v_add_f64 v[14:15], v[58:59], -v[14:15]
	;; [unrolled: 1-line block ×8, first 2 shown]
	v_fma_f64 v[16:17], v[56:57], 2.0, -v[12:13]
	v_fma_f64 v[18:19], v[58:59], 2.0, -v[14:15]
	;; [unrolled: 1-line block ×8, first 2 shown]
	s_barrier
	ds_write_b128 v238, v[8:11]
	ds_write_b128 v238, v[4:7] offset:176
	ds_write_b128 v239, v[16:19]
	ds_write_b128 v239, v[12:15] offset:176
	;; [unrolled: 2-line block ×5, first 2 shown]
	s_waitcnt lgkmcnt(0)
	s_barrier
	ds_read_b128 v[124:127], v187
	ds_read_b128 v[16:19], v187 offset:3168
	ds_read_b128 v[132:135], v187 offset:21120
	;; [unrolled: 1-line block ×8, first 2 shown]
	s_and_saveexec_b64 s[0:1], s[2:3]
	s_cbranch_execz .LBB0_23
; %bb.22:
	ds_read_b128 v[0:3], v187 offset:9504
	ds_read_b128 v[168:171], v187 offset:20064
	;; [unrolled: 1-line block ×3, first 2 shown]
.LBB0_23:
	s_or_b64 exec, exec, s[0:1]
	s_waitcnt lgkmcnt(4)
	v_mul_f64 v[26:27], v[50:51], v[142:143]
	v_mul_f64 v[20:21], v[50:51], v[140:141]
	v_accvgpr_read_b32 v22, a32
	v_fmac_f64_e32 v[26:27], v[48:49], v[140:141]
	v_fma_f64 v[48:49], v[48:49], v[142:143], -v[20:21]
	v_mul_f64 v[50:51], v[46:47], v[134:135]
	v_mul_f64 v[20:21], v[46:47], v[132:133]
	v_accvgpr_read_b32 v24, a34
	v_accvgpr_read_b32 v25, a35
	s_waitcnt lgkmcnt(1)
	v_mul_f64 v[58:59], v[34:35], v[10:11]
	v_fmac_f64_e32 v[50:51], v[44:45], v[132:133]
	v_fma_f64 v[44:45], v[44:45], v[134:135], -v[20:21]
	v_accvgpr_read_b32 v23, a33
	v_mul_f64 v[46:47], v[24:25], v[138:139]
	v_mul_f64 v[20:21], v[24:25], v[136:137]
	v_fmac_f64_e32 v[58:59], v[32:33], v[8:9]
	v_mul_f64 v[8:9], v[34:35], v[8:9]
	v_fmac_f64_e32 v[46:47], v[22:23], v[136:137]
	v_fma_f64 v[52:53], v[22:23], v[138:139], -v[20:21]
	v_accvgpr_read_b32 v22, a28
	v_fma_f64 v[8:9], v[32:33], v[10:11], -v[8:9]
	s_waitcnt lgkmcnt(0)
	v_mul_f64 v[10:11], v[30:31], v[6:7]
	v_accvgpr_read_b32 v24, a30
	v_accvgpr_read_b32 v25, a31
	v_fmac_f64_e32 v[10:11], v[28:29], v[4:5]
	v_mul_f64 v[4:5], v[30:31], v[4:5]
	v_accvgpr_read_b32 v23, a29
	v_mul_f64 v[20:21], v[24:25], v[128:129]
	v_fma_f64 v[4:5], v[28:29], v[6:7], -v[4:5]
	v_mul_f64 v[6:7], v[42:43], v[168:169]
	v_mul_f64 v[54:55], v[24:25], v[130:131]
	v_fma_f64 v[56:57], v[22:23], v[130:131], -v[20:21]
	v_fma_f64 v[130:131], v[40:41], v[170:171], -v[6:7]
	v_mul_f64 v[132:133], v[38:39], v[122:123]
	v_mul_f64 v[6:7], v[38:39], v[120:121]
	v_fmac_f64_e32 v[132:133], v[36:37], v[120:121]
	v_fma_f64 v[120:121], v[36:37], v[122:123], -v[6:7]
	v_add_f64 v[6:7], v[124:125], v[26:27]
	v_add_f64 v[20:21], v[6:7], v[50:51]
	;; [unrolled: 1-line block ×3, first 2 shown]
	s_mov_b32 s0, 0xe8584caa
	v_fmac_f64_e32 v[124:125], -0.5, v[6:7]
	v_add_f64 v[6:7], v[48:49], -v[44:45]
	s_mov_b32 s1, 0xbfebb67a
	s_mov_b32 s7, 0x3febb67a
	;; [unrolled: 1-line block ×3, first 2 shown]
	v_fma_f64 v[24:25], s[0:1], v[6:7], v[124:125]
	v_fmac_f64_e32 v[124:125], s[6:7], v[6:7]
	v_add_f64 v[6:7], v[126:127], v[48:49]
	v_fmac_f64_e32 v[54:55], v[22:23], v[128:129]
	v_add_f64 v[22:23], v[6:7], v[44:45]
	v_add_f64 v[6:7], v[48:49], v[44:45]
	v_fmac_f64_e32 v[126:127], -0.5, v[6:7]
	v_add_f64 v[6:7], v[26:27], -v[50:51]
	v_fma_f64 v[26:27], s[6:7], v[6:7], v[126:127]
	v_fmac_f64_e32 v[126:127], s[0:1], v[6:7]
	v_add_f64 v[6:7], v[16:17], v[46:47]
	v_add_f64 v[28:29], v[6:7], v[54:55]
	v_add_f64 v[6:7], v[46:47], v[54:55]
	v_fmac_f64_e32 v[16:17], -0.5, v[6:7]
	v_add_f64 v[6:7], v[52:53], -v[56:57]
	v_fma_f64 v[32:33], s[0:1], v[6:7], v[16:17]
	v_fmac_f64_e32 v[16:17], s[6:7], v[6:7]
	v_add_f64 v[6:7], v[18:19], v[52:53]
	;; [unrolled: 7-line block ×3, first 2 shown]
	v_add_f64 v[36:37], v[6:7], v[10:11]
	v_add_f64 v[6:7], v[58:59], v[10:11]
	v_mul_f64 v[128:129], v[42:43], v[170:171]
	v_fmac_f64_e32 v[12:13], -0.5, v[6:7]
	v_add_f64 v[6:7], v[8:9], -v[4:5]
	v_fmac_f64_e32 v[128:129], v[40:41], v[168:169]
	v_fma_f64 v[40:41], s[0:1], v[6:7], v[12:13]
	v_fmac_f64_e32 v[12:13], s[6:7], v[6:7]
	v_add_f64 v[6:7], v[14:15], v[8:9]
	v_add_f64 v[38:39], v[6:7], v[4:5]
	;; [unrolled: 1-line block ×3, first 2 shown]
	v_fmac_f64_e32 v[14:15], -0.5, v[4:5]
	v_add_f64 v[4:5], v[58:59], -v[10:11]
	v_add_f64 v[6:7], v[128:129], v[132:133]
	v_fma_f64 v[42:43], s[6:7], v[4:5], v[14:15]
	v_fmac_f64_e32 v[14:15], s[0:1], v[4:5]
	v_add_f64 v[4:5], v[0:1], v[128:129]
	v_fmac_f64_e32 v[0:1], -0.5, v[6:7]
	v_add_f64 v[6:7], v[130:131], -v[120:121]
	v_add_f64 v[10:11], v[130:131], v[120:121]
	v_fma_f64 v[8:9], s[0:1], v[6:7], v[0:1]
	v_fmac_f64_e32 v[0:1], s[6:7], v[6:7]
	v_add_f64 v[6:7], v[2:3], v[130:131]
	v_fmac_f64_e32 v[2:3], -0.5, v[10:11]
	v_add_f64 v[44:45], v[128:129], -v[132:133]
	s_barrier
	ds_write_b128 v255, v[20:23]
	ds_write_b128 v255, v[24:27] offset:352
	ds_write_b128 v255, v[124:127] offset:704
	v_accvgpr_read_b32 v20, a45
	v_add_f64 v[4:5], v[4:5], v[132:133]
	v_add_f64 v[6:7], v[6:7], v[120:121]
	v_fma_f64 v[10:11], s[6:7], v[44:45], v[2:3]
	v_fmac_f64_e32 v[2:3], s[0:1], v[44:45]
	ds_write_b128 v20, v[28:31]
	ds_write_b128 v20, v[32:35] offset:352
	ds_write_b128 v20, v[16:19] offset:704
	v_accvgpr_read_b32 v16, a46
	ds_write_b128 v16, v[36:39]
	ds_write_b128 v16, v[40:43] offset:352
	ds_write_b128 v16, v[12:15] offset:704
	s_and_saveexec_b64 s[0:1], s[2:3]
	s_cbranch_execz .LBB0_25
; %bb.24:
	s_movk_i32 s6, 0x42
	v_mad_legacy_u16 v12, v234, s6, v235
	v_lshlrev_b32_e32 v12, 4, v12
	ds_write_b128 v12, v[4:7]
	ds_write_b128 v12, v[8:11] offset:352
	ds_write_b128 v12, v[0:3] offset:704
.LBB0_25:
	s_or_b64 exec, exec, s[0:1]
	s_waitcnt lgkmcnt(0)
	s_barrier
	ds_read_b128 v[20:23], v187
	ds_read_b128 v[16:19], v187 offset:3168
	ds_read_b128 v[36:39], v187 offset:21120
	;; [unrolled: 1-line block ×8, first 2 shown]
	s_and_saveexec_b64 s[0:1], s[2:3]
	s_cbranch_execz .LBB0_27
; %bb.26:
	ds_read_b128 v[4:7], v187 offset:9504
	ds_read_b128 v[8:11], v187 offset:20064
	;; [unrolled: 1-line block ×3, first 2 shown]
.LBB0_27:
	s_or_b64 exec, exec, s[0:1]
	s_waitcnt lgkmcnt(4)
	v_mul_f64 v[48:49], v[66:67], v[46:47]
	v_fmac_f64_e32 v[48:49], v[64:65], v[44:45]
	v_mul_f64 v[44:45], v[66:67], v[44:45]
	v_fma_f64 v[44:45], v[64:65], v[46:47], -v[44:45]
	v_mul_f64 v[46:47], v[62:63], v[38:39]
	v_fmac_f64_e32 v[46:47], v[60:61], v[36:37]
	v_mul_f64 v[36:37], v[62:63], v[36:37]
	v_fma_f64 v[36:37], v[60:61], v[38:39], -v[36:37]
	s_waitcnt lgkmcnt(2)
	v_mul_f64 v[38:39], v[74:75], v[42:43]
	s_waitcnt lgkmcnt(0)
	v_mul_f64 v[56:57], v[78:79], v[26:27]
	v_fmac_f64_e32 v[38:39], v[72:73], v[40:41]
	v_mul_f64 v[40:41], v[74:75], v[40:41]
	v_mul_f64 v[52:53], v[82:83], v[30:31]
	v_fmac_f64_e32 v[56:57], v[76:77], v[24:25]
	v_mul_f64 v[24:25], v[78:79], v[24:25]
	v_fma_f64 v[40:41], v[72:73], v[42:43], -v[40:41]
	v_mul_f64 v[42:43], v[70:71], v[34:35]
	v_fmac_f64_e32 v[52:53], v[80:81], v[28:29]
	v_mul_f64 v[28:29], v[82:83], v[28:29]
	v_fma_f64 v[58:59], v[76:77], v[26:27], -v[24:25]
	v_add_f64 v[26:27], v[48:49], v[46:47]
	s_mov_b32 s0, 0xe8584caa
	v_fmac_f64_e32 v[42:43], v[68:69], v[32:33]
	v_mul_f64 v[32:33], v[70:71], v[32:33]
	v_fma_f64 v[54:55], v[80:81], v[30:31], -v[28:29]
	v_add_f64 v[24:25], v[20:21], v[48:49]
	v_fmac_f64_e32 v[20:21], -0.5, v[26:27]
	v_add_f64 v[26:27], v[44:45], -v[36:37]
	s_mov_b32 s1, 0xbfebb67a
	s_mov_b32 s6, s0
	v_add_f64 v[30:31], v[44:45], v[36:37]
	v_fma_f64 v[50:51], v[68:69], v[34:35], -v[32:33]
	v_fma_f64 v[28:29], s[0:1], v[26:27], v[20:21]
	v_fmac_f64_e32 v[20:21], s[6:7], v[26:27]
	v_add_f64 v[26:27], v[22:23], v[44:45]
	v_fmac_f64_e32 v[22:23], -0.5, v[30:31]
	v_add_f64 v[32:33], v[48:49], -v[46:47]
	v_add_f64 v[34:35], v[38:39], v[42:43]
	v_fma_f64 v[30:31], s[6:7], v[32:33], v[22:23]
	v_fmac_f64_e32 v[22:23], s[0:1], v[32:33]
	v_add_f64 v[32:33], v[16:17], v[38:39]
	v_fmac_f64_e32 v[16:17], -0.5, v[34:35]
	v_add_f64 v[34:35], v[40:41], -v[50:51]
	v_add_f64 v[26:27], v[26:27], v[36:37]
	v_fma_f64 v[36:37], s[0:1], v[34:35], v[16:17]
	v_fmac_f64_e32 v[16:17], s[6:7], v[34:35]
	v_add_f64 v[34:35], v[18:19], v[40:41]
	v_add_f64 v[40:41], v[40:41], v[50:51]
	;; [unrolled: 1-line block ×3, first 2 shown]
	v_fmac_f64_e32 v[18:19], -0.5, v[40:41]
	v_add_f64 v[40:41], v[38:39], -v[42:43]
	v_add_f64 v[42:43], v[52:53], v[56:57]
	v_add_f64 v[24:25], v[24:25], v[46:47]
	v_fma_f64 v[38:39], s[6:7], v[40:41], v[18:19]
	v_fmac_f64_e32 v[18:19], s[0:1], v[40:41]
	v_add_f64 v[40:41], v[12:13], v[52:53]
	v_fmac_f64_e32 v[12:13], -0.5, v[42:43]
	v_add_f64 v[42:43], v[54:55], -v[58:59]
	v_add_f64 v[46:47], v[54:55], v[58:59]
	v_fma_f64 v[44:45], s[0:1], v[42:43], v[12:13]
	v_fmac_f64_e32 v[12:13], s[6:7], v[42:43]
	v_add_f64 v[42:43], v[14:15], v[54:55]
	v_fmac_f64_e32 v[14:15], -0.5, v[46:47]
	v_add_f64 v[48:49], v[52:53], -v[56:57]
	v_fma_f64 v[46:47], s[6:7], v[48:49], v[14:15]
	v_fmac_f64_e32 v[14:15], s[0:1], v[48:49]
	v_accvgpr_read_b32 v48, a48
	v_add_f64 v[34:35], v[34:35], v[50:51]
	s_barrier
	ds_write_b128 v48, v[24:27]
	ds_write_b128 v48, v[28:31] offset:1056
	ds_write_b128 v48, v[20:23] offset:2112
	v_accvgpr_read_b32 v20, a49
	v_add_f64 v[40:41], v[40:41], v[56:57]
	v_add_f64 v[42:43], v[42:43], v[58:59]
	ds_write_b128 v20, v[32:35]
	ds_write_b128 v20, v[36:39] offset:1056
	ds_write_b128 v20, v[16:19] offset:2112
	v_accvgpr_read_b32 v16, a50
	ds_write_b128 v16, v[40:43]
	ds_write_b128 v16, v[44:47] offset:1056
	ds_write_b128 v16, v[12:15] offset:2112
	s_and_saveexec_b64 s[16:17], s[2:3]
	s_cbranch_execz .LBB0_29
; %bb.28:
	v_accvgpr_read_b32 v24, a40
	v_accvgpr_read_b32 v26, a42
	v_accvgpr_read_b32 v27, a43
	v_accvgpr_read_b32 v20, a36
	v_accvgpr_read_b32 v25, a41
	v_mul_f64 v[12:13], v[26:27], v[8:9]
	v_accvgpr_read_b32 v22, a38
	v_accvgpr_read_b32 v23, a39
	v_fma_f64 v[14:15], v[24:25], v[10:11], -v[12:13]
	v_accvgpr_read_b32 v21, a37
	v_mul_f64 v[12:13], v[22:23], v[0:1]
	v_mul_f64 v[18:19], v[26:27], v[10:11]
	v_fma_f64 v[16:17], v[20:21], v[2:3], -v[12:13]
	v_fmac_f64_e32 v[18:19], v[24:25], v[8:9]
	v_mul_f64 v[8:9], v[22:23], v[2:3]
	v_add_f64 v[12:13], v[14:15], v[16:17]
	v_fmac_f64_e32 v[8:9], v[20:21], v[0:1]
	v_fma_f64 v[12:13], -0.5, v[12:13], v[6:7]
	v_add_f64 v[0:1], v[18:19], -v[8:9]
	v_fma_f64 v[2:3], s[0:1], v[0:1], v[12:13]
	v_fmac_f64_e32 v[12:13], s[6:7], v[0:1]
	v_add_f64 v[0:1], v[6:7], v[14:15]
	v_add_f64 v[6:7], v[0:1], v[16:17]
	;; [unrolled: 1-line block ×3, first 2 shown]
	v_fma_f64 v[10:11], -0.5, v[0:1], v[4:5]
	v_add_f64 v[4:5], v[4:5], v[18:19]
	v_add_f64 v[14:15], v[14:15], -v[16:17]
	v_add_f64 v[4:5], v[4:5], v[8:9]
	v_accvgpr_read_b32 v8, a47
	v_fma_f64 v[0:1], s[6:7], v[14:15], v[10:11]
	v_fmac_f64_e32 v[10:11], s[0:1], v[14:15]
	ds_write_b128 v8, v[4:7] offset:28512
	ds_write_b128 v8, v[10:13] offset:29568
	;; [unrolled: 1-line block ×3, first 2 shown]
.LBB0_29:
	s_or_b64 exec, exec, s[16:17]
	s_waitcnt lgkmcnt(0)
	s_barrier
	ds_read_b128 v[0:3], v187
	ds_read_b128 v[4:7], v187 offset:3168
	ds_read_b128 v[8:11], v187 offset:6336
	;; [unrolled: 1-line block ×9, first 2 shown]
	s_waitcnt lgkmcnt(7)
	v_mul_f64 v[40:41], v[98:99], v[10:11]
	v_fmac_f64_e32 v[40:41], v[96:97], v[8:9]
	v_mul_f64 v[8:9], v[98:99], v[8:9]
	v_fma_f64 v[42:43], v[96:97], v[10:11], -v[8:9]
	s_waitcnt lgkmcnt(5)
	v_mul_f64 v[8:9], v[94:95], v[16:17]
	v_mul_f64 v[44:45], v[94:95], v[18:19]
	v_fma_f64 v[46:47], v[92:93], v[18:19], -v[8:9]
	s_waitcnt lgkmcnt(3)
	v_mul_f64 v[48:49], v[90:91], v[26:27]
	v_mul_f64 v[8:9], v[90:91], v[24:25]
	v_fmac_f64_e32 v[44:45], v[92:93], v[16:17]
	v_fmac_f64_e32 v[48:49], v[88:89], v[24:25]
	v_fma_f64 v[24:25], v[88:89], v[26:27], -v[8:9]
	s_waitcnt lgkmcnt(1)
	v_mul_f64 v[8:9], v[86:87], v[32:33]
	v_mul_f64 v[18:19], v[86:87], v[34:35]
	v_fma_f64 v[26:27], v[84:85], v[34:35], -v[8:9]
	v_mul_f64 v[34:35], v[98:99], v[14:15]
	v_mul_f64 v[8:9], v[98:99], v[12:13]
	v_add_f64 v[10:11], v[44:45], v[48:49]
	s_mov_b32 s2, 0x134454ff
	v_fmac_f64_e32 v[18:19], v[84:85], v[32:33]
	v_fmac_f64_e32 v[34:35], v[96:97], v[12:13]
	v_fma_f64 v[50:51], v[96:97], v[14:15], -v[8:9]
	v_mul_f64 v[52:53], v[94:95], v[22:23]
	v_mul_f64 v[8:9], v[94:95], v[20:21]
	v_fma_f64 v[12:13], -0.5, v[10:11], v[0:1]
	v_add_f64 v[10:11], v[42:43], -v[26:27]
	s_mov_b32 s3, 0xbfee6f0e
	s_mov_b32 s0, 0x4755a5e
	;; [unrolled: 1-line block ×4, first 2 shown]
	v_fmac_f64_e32 v[52:53], v[92:93], v[20:21]
	v_fma_f64 v[54:55], v[92:93], v[22:23], -v[8:9]
	v_fma_f64 v[16:17], s[2:3], v[10:11], v[12:13]
	v_add_f64 v[14:15], v[46:47], -v[24:25]
	s_mov_b32 s1, 0xbfe2cf23
	v_add_f64 v[20:21], v[40:41], -v[44:45]
	v_add_f64 v[22:23], v[18:19], -v[48:49]
	s_mov_b32 s6, 0x372fe950
	v_fmac_f64_e32 v[12:13], s[16:17], v[10:11]
	s_mov_b32 s19, 0x3fe2cf23
	s_mov_b32 s18, s0
	v_mul_f64 v[8:9], v[90:91], v[28:29]
	v_fmac_f64_e32 v[16:17], s[0:1], v[14:15]
	v_add_f64 v[20:21], v[20:21], v[22:23]
	s_mov_b32 s7, 0x3fd3c6ef
	v_fmac_f64_e32 v[12:13], s[18:19], v[14:15]
	v_fma_f64 v[58:59], v[88:89], v[30:31], -v[8:9]
	s_waitcnt lgkmcnt(0)
	v_mul_f64 v[8:9], v[86:87], v[36:37]
	v_fmac_f64_e32 v[16:17], s[6:7], v[20:21]
	v_fmac_f64_e32 v[12:13], s[6:7], v[20:21]
	v_add_f64 v[20:21], v[40:41], v[18:19]
	v_mul_f64 v[56:57], v[90:91], v[30:31]
	v_fma_f64 v[62:63], v[84:85], v[38:39], -v[8:9]
	v_add_f64 v[8:9], v[0:1], v[40:41]
	v_fmac_f64_e32 v[0:1], -0.5, v[20:21]
	v_fmac_f64_e32 v[56:57], v[88:89], v[28:29]
	v_add_f64 v[8:9], v[8:9], v[44:45]
	v_fma_f64 v[20:21], s[16:17], v[14:15], v[0:1]
	v_add_f64 v[22:23], v[44:45], -v[40:41]
	v_add_f64 v[28:29], v[48:49], -v[18:19]
	v_fmac_f64_e32 v[0:1], s[2:3], v[14:15]
	v_add_f64 v[14:15], v[46:47], v[24:25]
	v_add_f64 v[8:9], v[8:9], v[48:49]
	v_fmac_f64_e32 v[20:21], s[0:1], v[10:11]
	v_add_f64 v[22:23], v[22:23], v[28:29]
	v_fmac_f64_e32 v[0:1], s[18:19], v[10:11]
	v_fma_f64 v[14:15], -0.5, v[14:15], v[2:3]
	v_add_f64 v[28:29], v[40:41], -v[18:19]
	v_add_f64 v[8:9], v[8:9], v[18:19]
	v_fmac_f64_e32 v[20:21], s[6:7], v[22:23]
	v_fmac_f64_e32 v[0:1], s[6:7], v[22:23]
	v_fma_f64 v[18:19], s[16:17], v[28:29], v[14:15]
	v_add_f64 v[30:31], v[44:45], -v[48:49]
	v_add_f64 v[22:23], v[42:43], -v[46:47]
	;; [unrolled: 1-line block ×3, first 2 shown]
	v_fmac_f64_e32 v[14:15], s[2:3], v[28:29]
	v_add_f64 v[10:11], v[2:3], v[42:43]
	v_fmac_f64_e32 v[18:19], s[18:19], v[30:31]
	v_add_f64 v[22:23], v[22:23], v[32:33]
	;; [unrolled: 2-line block ×3, first 2 shown]
	v_fmac_f64_e32 v[18:19], s[6:7], v[22:23]
	v_fmac_f64_e32 v[14:15], s[6:7], v[22:23]
	v_add_f64 v[22:23], v[42:43], v[26:27]
	v_add_f64 v[10:11], v[10:11], v[24:25]
	v_fmac_f64_e32 v[2:3], -0.5, v[22:23]
	v_mul_f64 v[60:61], v[86:87], v[38:39]
	v_add_f64 v[10:11], v[10:11], v[26:27]
	v_fma_f64 v[22:23], s[2:3], v[30:31], v[2:3]
	v_add_f64 v[24:25], v[24:25], -v[26:27]
	v_fmac_f64_e32 v[2:3], s[16:17], v[30:31]
	v_add_f64 v[26:27], v[52:53], v[56:57]
	v_fmac_f64_e32 v[60:61], v[84:85], v[36:37]
	v_fmac_f64_e32 v[22:23], s[18:19], v[28:29]
	v_add_f64 v[32:33], v[46:47], -v[42:43]
	v_fmac_f64_e32 v[2:3], s[0:1], v[28:29]
	v_fma_f64 v[28:29], -0.5, v[26:27], v[4:5]
	v_add_f64 v[26:27], v[50:51], -v[62:63]
	v_add_f64 v[24:25], v[32:33], v[24:25]
	v_fma_f64 v[32:33], s[2:3], v[26:27], v[28:29]
	v_add_f64 v[30:31], v[54:55], -v[58:59]
	v_add_f64 v[36:37], v[34:35], -v[52:53]
	;; [unrolled: 1-line block ×3, first 2 shown]
	v_fmac_f64_e32 v[28:29], s[16:17], v[26:27]
	v_fmac_f64_e32 v[32:33], s[0:1], v[30:31]
	v_add_f64 v[36:37], v[36:37], v[38:39]
	v_fmac_f64_e32 v[28:29], s[18:19], v[30:31]
	v_fmac_f64_e32 v[32:33], s[6:7], v[36:37]
	;; [unrolled: 1-line block ×3, first 2 shown]
	v_add_f64 v[36:37], v[34:35], v[60:61]
	v_fmac_f64_e32 v[22:23], s[6:7], v[24:25]
	v_fmac_f64_e32 v[2:3], s[6:7], v[24:25]
	v_add_f64 v[24:25], v[4:5], v[34:35]
	v_fmac_f64_e32 v[4:5], -0.5, v[36:37]
	v_fma_f64 v[36:37], s[16:17], v[30:31], v[4:5]
	v_add_f64 v[38:39], v[52:53], -v[34:35]
	v_add_f64 v[40:41], v[56:57], -v[60:61]
	v_fmac_f64_e32 v[4:5], s[2:3], v[30:31]
	v_add_f64 v[30:31], v[54:55], v[58:59]
	v_fmac_f64_e32 v[36:37], s[0:1], v[26:27]
	v_add_f64 v[38:39], v[38:39], v[40:41]
	v_fmac_f64_e32 v[4:5], s[18:19], v[26:27]
	v_fma_f64 v[30:31], -0.5, v[30:31], v[6:7]
	v_add_f64 v[40:41], v[34:35], -v[60:61]
	v_fmac_f64_e32 v[36:37], s[6:7], v[38:39]
	v_fmac_f64_e32 v[4:5], s[6:7], v[38:39]
	v_fma_f64 v[34:35], s[16:17], v[40:41], v[30:31]
	v_add_f64 v[42:43], v[52:53], -v[56:57]
	v_add_f64 v[38:39], v[50:51], -v[54:55]
	;; [unrolled: 1-line block ×3, first 2 shown]
	v_fmac_f64_e32 v[30:31], s[2:3], v[40:41]
	v_fmac_f64_e32 v[34:35], s[18:19], v[42:43]
	v_add_f64 v[38:39], v[38:39], v[44:45]
	v_fmac_f64_e32 v[30:31], s[0:1], v[42:43]
	v_fmac_f64_e32 v[34:35], s[6:7], v[38:39]
	;; [unrolled: 1-line block ×3, first 2 shown]
	v_add_f64 v[38:39], v[50:51], v[62:63]
	v_add_f64 v[26:27], v[6:7], v[50:51]
	v_fmac_f64_e32 v[6:7], -0.5, v[38:39]
	v_add_f64 v[24:25], v[24:25], v[52:53]
	v_add_f64 v[26:27], v[26:27], v[54:55]
	v_fma_f64 v[38:39], s[2:3], v[42:43], v[6:7]
	v_add_f64 v[44:45], v[54:55], -v[50:51]
	v_add_f64 v[46:47], v[58:59], -v[62:63]
	v_fmac_f64_e32 v[6:7], s[16:17], v[42:43]
	v_add_f64 v[24:25], v[24:25], v[56:57]
	v_add_f64 v[26:27], v[26:27], v[58:59]
	v_fmac_f64_e32 v[38:39], s[18:19], v[40:41]
	v_add_f64 v[44:45], v[44:45], v[46:47]
	v_fmac_f64_e32 v[6:7], s[0:1], v[40:41]
	v_add_f64 v[24:25], v[24:25], v[60:61]
	v_add_f64 v[26:27], v[26:27], v[62:63]
	v_fmac_f64_e32 v[38:39], s[6:7], v[44:45]
	v_fmac_f64_e32 v[6:7], s[6:7], v[44:45]
	s_barrier
	ds_write_b128 v187, v[8:11]
	ds_write_b128 v187, v[16:19] offset:3168
	ds_write_b128 v187, v[20:23] offset:6336
	;; [unrolled: 1-line block ×9, first 2 shown]
	s_waitcnt lgkmcnt(0)
	s_barrier
	ds_read_b128 v[0:3], v187 offset:15840
	ds_read_b128 v[4:7], v187
	ds_read_b128 v[8:11], v187 offset:3168
	ds_read_b128 v[12:15], v187 offset:19008
	;; [unrolled: 1-line block ×8, first 2 shown]
	s_waitcnt lgkmcnt(9)
	v_mul_f64 v[40:41], v[106:107], v[2:3]
	v_fmac_f64_e32 v[40:41], v[104:105], v[0:1]
	v_mul_f64 v[0:1], v[106:107], v[0:1]
	v_fma_f64 v[2:3], v[104:105], v[2:3], -v[0:1]
	s_waitcnt lgkmcnt(6)
	v_mul_f64 v[0:1], v[102:103], v[12:13]
	v_mul_f64 v[42:43], v[102:103], v[14:15]
	v_fma_f64 v[14:15], v[100:101], v[14:15], -v[0:1]
	s_waitcnt lgkmcnt(5)
	v_mul_f64 v[0:1], v[110:111], v[16:17]
	;; [unrolled: 4-line block ×4, first 2 shown]
	v_mul_f64 v[0:1], v[118:119], v[36:37]
	v_fmac_f64_e32 v[42:43], v[100:101], v[12:13]
	v_fmac_f64_e32 v[44:45], v[108:109], v[16:17]
	;; [unrolled: 1-line block ×4, first 2 shown]
	v_fma_f64 v[38:39], v[116:117], v[38:39], -v[0:1]
	v_add_f64 v[0:1], v[4:5], -v[40:41]
	v_add_f64 v[2:3], v[6:7], -v[2:3]
	v_fma_f64 v[4:5], v[4:5], 2.0, -v[0:1]
	v_fma_f64 v[6:7], v[6:7], 2.0, -v[2:3]
	v_add_f64 v[12:13], v[8:9], -v[42:43]
	v_add_f64 v[14:15], v[10:11], -v[14:15]
	;; [unrolled: 1-line block ×8, first 2 shown]
	v_fma_f64 v[8:9], v[8:9], 2.0, -v[12:13]
	v_fma_f64 v[10:11], v[10:11], 2.0, -v[14:15]
	;; [unrolled: 1-line block ×8, first 2 shown]
	ds_write_b128 v187, v[4:7]
	ds_write_b128 v187, v[0:3] offset:15840
	ds_write_b128 v187, v[8:11] offset:3168
	;; [unrolled: 1-line block ×9, first 2 shown]
	s_waitcnt lgkmcnt(0)
	s_barrier
	s_and_b64 exec, exec, s[4:5]
	s_cbranch_execz .LBB0_31
; %bb.30:
	global_load_dwordx4 v[0:3], v184, s[14:15]
	global_load_dwordx4 v[4:7], v184, s[14:15] offset:2880
	v_mov_b32_e32 v185, 0
	s_movk_i32 s0, 0x1000
	v_lshl_add_u64 v[20:21], s[14:15], 0, v[184:185]
	v_add_co_u32_e32 v8, vcc, s0, v20
	v_mad_u64_u32 v[24:25], s[0:1], s10, v182, 0
	s_nop 0
	v_addc_co_u32_e32 v9, vcc, 0, v21, vcc
	global_load_dwordx4 v[12:15], v[8:9], off offset:1664
	s_movk_i32 s0, 0x2000
	v_add_co_u32_e32 v34, vcc, s0, v20
	ds_read_b128 v[16:19], v187
	s_nop 0
	v_addc_co_u32_e32 v35, vcc, 0, v21, vcc
	global_load_dwordx4 v[8:11], v[34:35], off offset:448
	ds_read_b128 v[26:29], v184 offset:2880
	ds_read_b128 v[30:33], v184 offset:5760
	global_load_dwordx4 v[34:37], v[34:35], off offset:3328
	v_mad_u64_u32 v[50:51], s[2:3], s8, v186, 0
	s_movk_i32 s3, 0x3000
	v_mov_b32_e32 v38, v25
	v_mad_u64_u32 v[46:47], s[4:5], s11, v182, v[38:39]
	v_add_co_u32_e32 v38, vcc, s3, v20
	s_movk_i32 s6, 0x4000
	s_nop 0
	v_addc_co_u32_e32 v39, vcc, 0, v21, vcc
	global_load_dwordx4 v[38:41], v[38:39], off offset:2112
	v_add_co_u32_e32 v52, vcc, s6, v20
	v_mov_b32_e32 v42, v51
	s_nop 0
	v_addc_co_u32_e32 v53, vcc, 0, v21, vcc
	v_mad_u64_u32 v[48:49], s[4:5], s9, v186, v[42:43]
	global_load_dwordx4 v[42:45], v[52:53], off offset:896
	v_mov_b32_e32 v22, s12
	v_mov_b32_e32 v23, s13
	s_movk_i32 s7, 0x5000
	v_mov_b32_e32 v25, v46
	v_mov_b32_e32 v51, v48
	global_load_dwordx4 v[46:49], v[52:53], off offset:3776
	v_add_co_u32_e32 v54, vcc, s7, v20
	v_lshl_add_u64 v[22:23], v[24:25], 4, v[22:23]
	s_nop 0
	v_addc_co_u32_e32 v55, vcc, 0, v21, vcc
	v_lshl_add_u64 v[22:23], v[50:51], 4, v[22:23]
	s_mov_b32 s0, 0xb37565e2
	s_mov_b32 s1, 0x3f408cab
	v_mov_b32_e32 v58, 0xb40
	s_movk_i32 s10, 0x6000
	s_mul_i32 s2, s9, 0xb40
	v_add_co_u32_e32 v56, vcc, s10, v20
	v_mad_u64_u32 v[24:25], s[4:5], s8, v58, v[22:23]
	s_nop 0
	v_addc_co_u32_e32 v57, vcc, 0, v21, vcc
	v_add_u32_e32 v25, s2, v25
	s_movk_i32 s3, 0x7000
	v_add_co_u32_e32 v20, vcc, s3, v20
	s_waitcnt vmcnt(7) lgkmcnt(2)
	v_mul_f64 v[50:51], v[18:19], v[2:3]
	v_mul_f64 v[2:3], v[16:17], v[2:3]
	v_fmac_f64_e32 v[50:51], v[16:17], v[0:1]
	v_fma_f64 v[16:17], v[0:1], v[18:19], -v[2:3]
	global_load_dwordx4 v[0:3], v[54:55], off offset:2560
	s_waitcnt vmcnt(7) lgkmcnt(1)
	v_mul_f64 v[52:53], v[28:29], v[6:7]
	v_mul_f64 v[6:7], v[26:27], v[6:7]
	v_fmac_f64_e32 v[52:53], v[26:27], v[4:5]
	v_fma_f64 v[18:19], v[4:5], v[28:29], -v[6:7]
	v_mul_f64 v[4:5], v[50:51], s[0:1]
	v_mul_f64 v[6:7], v[16:17], s[0:1]
	;; [unrolled: 1-line block ×4, first 2 shown]
	global_store_dwordx4 v[22:23], v[4:7], off
	global_store_dwordx4 v[24:25], v[16:19], off
	v_addc_co_u32_e32 v21, vcc, 0, v21, vcc
	s_waitcnt vmcnt(8) lgkmcnt(0)
	v_mul_f64 v[4:5], v[32:33], v[14:15]
	v_mul_f64 v[6:7], v[30:31], v[14:15]
	v_fmac_f64_e32 v[4:5], v[30:31], v[12:13]
	v_fma_f64 v[6:7], v[12:13], v[32:33], -v[6:7]
	global_load_dwordx4 v[12:15], v[56:57], off offset:1344
	v_mad_u64_u32 v[28:29], s[4:5], s8, v58, v[24:25]
	global_load_dwordx4 v[20:23], v[20:21], off offset:128
	ds_read_b128 v[16:19], v184 offset:8640
	v_mul_f64 v[4:5], v[4:5], s[0:1]
	v_mul_f64 v[6:7], v[6:7], s[0:1]
	v_add_u32_e32 v29, s2, v29
	global_store_dwordx4 v[28:29], v[4:7], off
	ds_read_b128 v[4:7], v184 offset:11520
	s_waitcnt vmcnt(10) lgkmcnt(1)
	v_mul_f64 v[24:25], v[18:19], v[10:11]
	v_mul_f64 v[10:11], v[16:17], v[10:11]
	v_fmac_f64_e32 v[24:25], v[16:17], v[8:9]
	v_fma_f64 v[8:9], v[8:9], v[18:19], -v[10:11]
	v_mul_f64 v[26:27], v[8:9], s[0:1]
	s_waitcnt vmcnt(9) lgkmcnt(0)
	v_mul_f64 v[8:9], v[6:7], v[36:37]
	v_fmac_f64_e32 v[8:9], v[4:5], v[34:35]
	v_mul_f64 v[4:5], v[4:5], v[36:37]
	v_mad_u64_u32 v[16:17], s[4:5], s8, v58, v[28:29]
	v_fma_f64 v[4:5], v[34:35], v[6:7], -v[4:5]
	v_mul_f64 v[24:25], v[24:25], s[0:1]
	v_add_u32_e32 v17, s2, v17
	v_mul_f64 v[10:11], v[4:5], s[0:1]
	ds_read_b128 v[4:7], v184 offset:14400
	global_store_dwordx4 v[16:17], v[24:27], off
	v_mul_f64 v[8:9], v[8:9], s[0:1]
	s_nop 0
	v_mad_u64_u32 v[24:25], s[4:5], s8, v58, v[16:17]
	v_add_u32_e32 v25, s2, v25
	global_store_dwordx4 v[24:25], v[8:11], off
	ds_read_b128 v[8:11], v184 offset:17280
	s_waitcnt vmcnt(10) lgkmcnt(1)
	v_mul_f64 v[16:17], v[6:7], v[40:41]
	v_fmac_f64_e32 v[16:17], v[4:5], v[38:39]
	v_mul_f64 v[4:5], v[4:5], v[40:41]
	v_fma_f64 v[4:5], v[38:39], v[6:7], -v[4:5]
	v_mul_f64 v[18:19], v[4:5], s[0:1]
	v_mad_u64_u32 v[24:25], s[4:5], s8, v58, v[24:25]
	s_waitcnt vmcnt(9) lgkmcnt(0)
	v_mul_f64 v[4:5], v[10:11], v[44:45]
	v_mul_f64 v[6:7], v[8:9], v[44:45]
	;; [unrolled: 1-line block ×3, first 2 shown]
	v_add_u32_e32 v25, s2, v25
	v_fmac_f64_e32 v[4:5], v[8:9], v[42:43]
	v_fma_f64 v[6:7], v[42:43], v[10:11], -v[6:7]
	ds_read_b128 v[8:11], v184 offset:20160
	global_store_dwordx4 v[24:25], v[16:19], off
	v_mad_u64_u32 v[24:25], s[4:5], s8, v58, v[24:25]
	v_mul_f64 v[4:5], v[4:5], s[0:1]
	v_mul_f64 v[6:7], v[6:7], s[0:1]
	v_add_u32_e32 v25, s2, v25
	global_store_dwordx4 v[24:25], v[4:7], off
	ds_read_b128 v[4:7], v184 offset:23040
	s_waitcnt vmcnt(10) lgkmcnt(1)
	v_mul_f64 v[16:17], v[10:11], v[48:49]
	v_fmac_f64_e32 v[16:17], v[8:9], v[46:47]
	v_mul_f64 v[8:9], v[8:9], v[48:49]
	v_fma_f64 v[8:9], v[46:47], v[10:11], -v[8:9]
	v_mul_f64 v[18:19], v[8:9], s[0:1]
	v_mad_u64_u32 v[24:25], s[4:5], s8, v58, v[24:25]
	v_mul_f64 v[16:17], v[16:17], s[0:1]
	v_add_u32_e32 v25, s2, v25
	s_waitcnt vmcnt(9) lgkmcnt(0)
	v_mul_f64 v[8:9], v[6:7], v[2:3]
	v_mul_f64 v[2:3], v[4:5], v[2:3]
	v_fmac_f64_e32 v[8:9], v[4:5], v[0:1]
	v_fma_f64 v[0:1], v[0:1], v[6:7], -v[2:3]
	v_mul_f64 v[10:11], v[0:1], s[0:1]
	ds_read_b128 v[0:3], v184 offset:25920
	ds_read_b128 v[4:7], v184 offset:28800
	global_store_dwordx4 v[24:25], v[16:19], off
	v_mul_f64 v[8:9], v[8:9], s[0:1]
	s_nop 0
	v_mad_u64_u32 v[16:17], s[4:5], s8, v58, v[24:25]
	v_add_u32_e32 v17, s2, v17
	global_store_dwordx4 v[16:17], v[8:11], off
	s_waitcnt vmcnt(8) lgkmcnt(1)
	s_nop 0
	v_mul_f64 v[8:9], v[2:3], v[14:15]
	v_fmac_f64_e32 v[8:9], v[0:1], v[12:13]
	v_mul_f64 v[0:1], v[0:1], v[14:15]
	v_fma_f64 v[0:1], v[12:13], v[2:3], -v[0:1]
	v_mul_f64 v[10:11], v[0:1], s[0:1]
	v_mad_u64_u32 v[12:13], s[4:5], s8, v58, v[16:17]
	s_waitcnt vmcnt(7) lgkmcnt(0)
	v_mul_f64 v[0:1], v[6:7], v[22:23]
	v_mul_f64 v[2:3], v[4:5], v[22:23]
	v_add_u32_e32 v13, s2, v13
	v_fmac_f64_e32 v[0:1], v[4:5], v[20:21]
	v_fma_f64 v[2:3], v[20:21], v[6:7], -v[2:3]
	v_mul_f64 v[8:9], v[8:9], s[0:1]
	v_mul_f64 v[0:1], v[0:1], s[0:1]
	;; [unrolled: 1-line block ×3, first 2 shown]
	v_mad_u64_u32 v[4:5], s[0:1], s8, v58, v[12:13]
	v_add_u32_e32 v5, s2, v5
	global_store_dwordx4 v[12:13], v[8:11], off
	global_store_dwordx4 v[4:5], v[0:3], off
.LBB0_31:
	s_endpgm
	.section	.rodata,"a",@progbits
	.p2align	6, 0x0
	.amdhsa_kernel bluestein_single_fwd_len1980_dim1_dp_op_CI_CI
		.amdhsa_group_segment_fixed_size 31680
		.amdhsa_private_segment_fixed_size 0
		.amdhsa_kernarg_size 104
		.amdhsa_user_sgpr_count 2
		.amdhsa_user_sgpr_dispatch_ptr 0
		.amdhsa_user_sgpr_queue_ptr 0
		.amdhsa_user_sgpr_kernarg_segment_ptr 1
		.amdhsa_user_sgpr_dispatch_id 0
		.amdhsa_user_sgpr_kernarg_preload_length 0
		.amdhsa_user_sgpr_kernarg_preload_offset 0
		.amdhsa_user_sgpr_private_segment_size 0
		.amdhsa_uses_dynamic_stack 0
		.amdhsa_enable_private_segment 0
		.amdhsa_system_sgpr_workgroup_id_x 1
		.amdhsa_system_sgpr_workgroup_id_y 0
		.amdhsa_system_sgpr_workgroup_id_z 0
		.amdhsa_system_sgpr_workgroup_info 0
		.amdhsa_system_vgpr_workitem_id 0
		.amdhsa_next_free_vgpr 320
		.amdhsa_next_free_sgpr 44
		.amdhsa_accum_offset 256
		.amdhsa_reserve_vcc 1
		.amdhsa_float_round_mode_32 0
		.amdhsa_float_round_mode_16_64 0
		.amdhsa_float_denorm_mode_32 3
		.amdhsa_float_denorm_mode_16_64 3
		.amdhsa_dx10_clamp 1
		.amdhsa_ieee_mode 1
		.amdhsa_fp16_overflow 0
		.amdhsa_tg_split 0
		.amdhsa_exception_fp_ieee_invalid_op 0
		.amdhsa_exception_fp_denorm_src 0
		.amdhsa_exception_fp_ieee_div_zero 0
		.amdhsa_exception_fp_ieee_overflow 0
		.amdhsa_exception_fp_ieee_underflow 0
		.amdhsa_exception_fp_ieee_inexact 0
		.amdhsa_exception_int_div_zero 0
	.end_amdhsa_kernel
	.text
.Lfunc_end0:
	.size	bluestein_single_fwd_len1980_dim1_dp_op_CI_CI, .Lfunc_end0-bluestein_single_fwd_len1980_dim1_dp_op_CI_CI
                                        ; -- End function
	.section	.AMDGPU.csdata,"",@progbits
; Kernel info:
; codeLenInByte = 18544
; NumSgprs: 50
; NumVgprs: 256
; NumAgprs: 64
; TotalNumVgprs: 320
; ScratchSize: 0
; MemoryBound: 0
; FloatMode: 240
; IeeeMode: 1
; LDSByteSize: 31680 bytes/workgroup (compile time only)
; SGPRBlocks: 6
; VGPRBlocks: 39
; NumSGPRsForWavesPerEU: 50
; NumVGPRsForWavesPerEU: 320
; AccumOffset: 256
; Occupancy: 1
; WaveLimiterHint : 1
; COMPUTE_PGM_RSRC2:SCRATCH_EN: 0
; COMPUTE_PGM_RSRC2:USER_SGPR: 2
; COMPUTE_PGM_RSRC2:TRAP_HANDLER: 0
; COMPUTE_PGM_RSRC2:TGID_X_EN: 1
; COMPUTE_PGM_RSRC2:TGID_Y_EN: 0
; COMPUTE_PGM_RSRC2:TGID_Z_EN: 0
; COMPUTE_PGM_RSRC2:TIDIG_COMP_CNT: 0
; COMPUTE_PGM_RSRC3_GFX90A:ACCUM_OFFSET: 63
; COMPUTE_PGM_RSRC3_GFX90A:TG_SPLIT: 0
	.text
	.p2alignl 6, 3212836864
	.fill 256, 4, 3212836864
	.type	__hip_cuid_ead763592052f98c,@object ; @__hip_cuid_ead763592052f98c
	.section	.bss,"aw",@nobits
	.globl	__hip_cuid_ead763592052f98c
__hip_cuid_ead763592052f98c:
	.byte	0                               ; 0x0
	.size	__hip_cuid_ead763592052f98c, 1

	.ident	"AMD clang version 19.0.0git (https://github.com/RadeonOpenCompute/llvm-project roc-6.4.0 25133 c7fe45cf4b819c5991fe208aaa96edf142730f1d)"
	.section	".note.GNU-stack","",@progbits
	.addrsig
	.addrsig_sym __hip_cuid_ead763592052f98c
	.amdgpu_metadata
---
amdhsa.kernels:
  - .agpr_count:     64
    .args:
      - .actual_access:  read_only
        .address_space:  global
        .offset:         0
        .size:           8
        .value_kind:     global_buffer
      - .actual_access:  read_only
        .address_space:  global
        .offset:         8
        .size:           8
        .value_kind:     global_buffer
      - .actual_access:  read_only
        .address_space:  global
        .offset:         16
        .size:           8
        .value_kind:     global_buffer
      - .actual_access:  read_only
        .address_space:  global
        .offset:         24
        .size:           8
        .value_kind:     global_buffer
      - .actual_access:  read_only
        .address_space:  global
        .offset:         32
        .size:           8
        .value_kind:     global_buffer
      - .offset:         40
        .size:           8
        .value_kind:     by_value
      - .address_space:  global
        .offset:         48
        .size:           8
        .value_kind:     global_buffer
      - .address_space:  global
        .offset:         56
        .size:           8
        .value_kind:     global_buffer
      - .address_space:  global
        .offset:         64
        .size:           8
        .value_kind:     global_buffer
      - .address_space:  global
        .offset:         72
        .size:           8
        .value_kind:     global_buffer
      - .offset:         80
        .size:           4
        .value_kind:     by_value
      - .address_space:  global
        .offset:         88
        .size:           8
        .value_kind:     global_buffer
      - .address_space:  global
        .offset:         96
        .size:           8
        .value_kind:     global_buffer
    .group_segment_fixed_size: 31680
    .kernarg_segment_align: 8
    .kernarg_segment_size: 104
    .language:       OpenCL C
    .language_version:
      - 2
      - 0
    .max_flat_workgroup_size: 198
    .name:           bluestein_single_fwd_len1980_dim1_dp_op_CI_CI
    .private_segment_fixed_size: 0
    .sgpr_count:     50
    .sgpr_spill_count: 0
    .symbol:         bluestein_single_fwd_len1980_dim1_dp_op_CI_CI.kd
    .uniform_work_group_size: 1
    .uses_dynamic_stack: false
    .vgpr_count:     320
    .vgpr_spill_count: 0
    .wavefront_size: 64
amdhsa.target:   amdgcn-amd-amdhsa--gfx950
amdhsa.version:
  - 1
  - 2
...

	.end_amdgpu_metadata
